;; amdgpu-corpus repo=ROCm/rocFFT kind=compiled arch=gfx1030 opt=O3
	.text
	.amdgcn_target "amdgcn-amd-amdhsa--gfx1030"
	.amdhsa_code_object_version 6
	.protected	fft_rtc_fwd_len1632_factors_17_2_2_3_8_wgs_102_tpt_102_halfLds_sp_ip_CI_sbrr_dirReg ; -- Begin function fft_rtc_fwd_len1632_factors_17_2_2_3_8_wgs_102_tpt_102_halfLds_sp_ip_CI_sbrr_dirReg
	.globl	fft_rtc_fwd_len1632_factors_17_2_2_3_8_wgs_102_tpt_102_halfLds_sp_ip_CI_sbrr_dirReg
	.p2align	8
	.type	fft_rtc_fwd_len1632_factors_17_2_2_3_8_wgs_102_tpt_102_halfLds_sp_ip_CI_sbrr_dirReg,@function
fft_rtc_fwd_len1632_factors_17_2_2_3_8_wgs_102_tpt_102_halfLds_sp_ip_CI_sbrr_dirReg: ; @fft_rtc_fwd_len1632_factors_17_2_2_3_8_wgs_102_tpt_102_halfLds_sp_ip_CI_sbrr_dirReg
; %bb.0:
	s_clause 0x2
	s_load_dwordx2 s[14:15], s[4:5], 0x18
	s_load_dwordx4 s[8:11], s[4:5], 0x0
	s_load_dwordx2 s[12:13], s[4:5], 0x50
	v_mul_u32_u24_e32 v1, 0x283, v0
	v_mov_b32_e32 v3, 0
	v_add_nc_u32_sdwa v5, s6, v1 dst_sel:DWORD dst_unused:UNUSED_PAD src0_sel:DWORD src1_sel:WORD_1
	v_mov_b32_e32 v1, 0
	v_mov_b32_e32 v6, v3
	v_mov_b32_e32 v2, 0
	s_waitcnt lgkmcnt(0)
	s_load_dwordx2 s[2:3], s[14:15], 0x0
	v_cmp_lt_u64_e64 s0, s[10:11], 2
	s_and_b32 vcc_lo, exec_lo, s0
	s_cbranch_vccnz .LBB0_8
; %bb.1:
	s_load_dwordx2 s[0:1], s[4:5], 0x10
	v_mov_b32_e32 v1, 0
	s_add_u32 s6, s14, 8
	v_mov_b32_e32 v2, 0
	s_addc_u32 s7, s15, 0
	s_mov_b64 s[18:19], 1
	s_waitcnt lgkmcnt(0)
	s_add_u32 s16, s0, 8
	s_addc_u32 s17, s1, 0
.LBB0_2:                                ; =>This Inner Loop Header: Depth=1
	s_load_dwordx2 s[20:21], s[16:17], 0x0
                                        ; implicit-def: $vgpr7_vgpr8
	s_mov_b32 s0, exec_lo
	s_waitcnt lgkmcnt(0)
	v_or_b32_e32 v4, s21, v6
	v_cmpx_ne_u64_e32 0, v[3:4]
	s_xor_b32 s1, exec_lo, s0
	s_cbranch_execz .LBB0_4
; %bb.3:                                ;   in Loop: Header=BB0_2 Depth=1
	v_cvt_f32_u32_e32 v4, s20
	v_cvt_f32_u32_e32 v7, s21
	s_sub_u32 s0, 0, s20
	s_subb_u32 s22, 0, s21
	v_fmac_f32_e32 v4, 0x4f800000, v7
	v_rcp_f32_e32 v4, v4
	v_mul_f32_e32 v4, 0x5f7ffffc, v4
	v_mul_f32_e32 v7, 0x2f800000, v4
	v_trunc_f32_e32 v7, v7
	v_fmac_f32_e32 v4, 0xcf800000, v7
	v_cvt_u32_f32_e32 v7, v7
	v_cvt_u32_f32_e32 v4, v4
	v_mul_lo_u32 v8, s0, v7
	v_mul_hi_u32 v9, s0, v4
	v_mul_lo_u32 v10, s22, v4
	v_add_nc_u32_e32 v8, v9, v8
	v_mul_lo_u32 v9, s0, v4
	v_add_nc_u32_e32 v8, v8, v10
	v_mul_hi_u32 v10, v4, v9
	v_mul_lo_u32 v11, v4, v8
	v_mul_hi_u32 v12, v4, v8
	v_mul_hi_u32 v13, v7, v9
	v_mul_lo_u32 v9, v7, v9
	v_mul_hi_u32 v14, v7, v8
	v_mul_lo_u32 v8, v7, v8
	v_add_co_u32 v10, vcc_lo, v10, v11
	v_add_co_ci_u32_e32 v11, vcc_lo, 0, v12, vcc_lo
	v_add_co_u32 v9, vcc_lo, v10, v9
	v_add_co_ci_u32_e32 v9, vcc_lo, v11, v13, vcc_lo
	v_add_co_ci_u32_e32 v10, vcc_lo, 0, v14, vcc_lo
	v_add_co_u32 v8, vcc_lo, v9, v8
	v_add_co_ci_u32_e32 v9, vcc_lo, 0, v10, vcc_lo
	v_add_co_u32 v4, vcc_lo, v4, v8
	v_add_co_ci_u32_e32 v7, vcc_lo, v7, v9, vcc_lo
	v_mul_hi_u32 v8, s0, v4
	v_mul_lo_u32 v10, s22, v4
	v_mul_lo_u32 v9, s0, v7
	v_add_nc_u32_e32 v8, v8, v9
	v_mul_lo_u32 v9, s0, v4
	v_add_nc_u32_e32 v8, v8, v10
	v_mul_hi_u32 v10, v4, v9
	v_mul_lo_u32 v11, v4, v8
	v_mul_hi_u32 v12, v4, v8
	v_mul_hi_u32 v13, v7, v9
	v_mul_lo_u32 v9, v7, v9
	v_mul_hi_u32 v14, v7, v8
	v_mul_lo_u32 v8, v7, v8
	v_add_co_u32 v10, vcc_lo, v10, v11
	v_add_co_ci_u32_e32 v11, vcc_lo, 0, v12, vcc_lo
	v_add_co_u32 v9, vcc_lo, v10, v9
	v_add_co_ci_u32_e32 v9, vcc_lo, v11, v13, vcc_lo
	v_add_co_ci_u32_e32 v10, vcc_lo, 0, v14, vcc_lo
	v_add_co_u32 v8, vcc_lo, v9, v8
	v_add_co_ci_u32_e32 v9, vcc_lo, 0, v10, vcc_lo
	v_add_co_u32 v4, vcc_lo, v4, v8
	v_add_co_ci_u32_e32 v11, vcc_lo, v7, v9, vcc_lo
	v_mul_hi_u32 v13, v5, v4
	v_mad_u64_u32 v[9:10], null, v6, v4, 0
	v_mad_u64_u32 v[7:8], null, v5, v11, 0
	;; [unrolled: 1-line block ×3, first 2 shown]
	v_add_co_u32 v4, vcc_lo, v13, v7
	v_add_co_ci_u32_e32 v7, vcc_lo, 0, v8, vcc_lo
	v_add_co_u32 v4, vcc_lo, v4, v9
	v_add_co_ci_u32_e32 v4, vcc_lo, v7, v10, vcc_lo
	v_add_co_ci_u32_e32 v7, vcc_lo, 0, v12, vcc_lo
	v_add_co_u32 v4, vcc_lo, v4, v11
	v_add_co_ci_u32_e32 v9, vcc_lo, 0, v7, vcc_lo
	v_mul_lo_u32 v10, s21, v4
	v_mad_u64_u32 v[7:8], null, s20, v4, 0
	v_mul_lo_u32 v11, s20, v9
	v_sub_co_u32 v7, vcc_lo, v5, v7
	v_add3_u32 v8, v8, v11, v10
	v_sub_nc_u32_e32 v10, v6, v8
	v_subrev_co_ci_u32_e64 v10, s0, s21, v10, vcc_lo
	v_add_co_u32 v11, s0, v4, 2
	v_add_co_ci_u32_e64 v12, s0, 0, v9, s0
	v_sub_co_u32 v13, s0, v7, s20
	v_sub_co_ci_u32_e32 v8, vcc_lo, v6, v8, vcc_lo
	v_subrev_co_ci_u32_e64 v10, s0, 0, v10, s0
	v_cmp_le_u32_e32 vcc_lo, s20, v13
	v_cmp_eq_u32_e64 s0, s21, v8
	v_cndmask_b32_e64 v13, 0, -1, vcc_lo
	v_cmp_le_u32_e32 vcc_lo, s21, v10
	v_cndmask_b32_e64 v14, 0, -1, vcc_lo
	v_cmp_le_u32_e32 vcc_lo, s20, v7
	;; [unrolled: 2-line block ×3, first 2 shown]
	v_cndmask_b32_e64 v15, 0, -1, vcc_lo
	v_cmp_eq_u32_e32 vcc_lo, s21, v10
	v_cndmask_b32_e64 v7, v15, v7, s0
	v_cndmask_b32_e32 v10, v14, v13, vcc_lo
	v_add_co_u32 v13, vcc_lo, v4, 1
	v_add_co_ci_u32_e32 v14, vcc_lo, 0, v9, vcc_lo
	v_cmp_ne_u32_e32 vcc_lo, 0, v10
	v_cndmask_b32_e32 v8, v14, v12, vcc_lo
	v_cndmask_b32_e32 v10, v13, v11, vcc_lo
	v_cmp_ne_u32_e32 vcc_lo, 0, v7
	v_cndmask_b32_e32 v8, v9, v8, vcc_lo
	v_cndmask_b32_e32 v7, v4, v10, vcc_lo
.LBB0_4:                                ;   in Loop: Header=BB0_2 Depth=1
	s_andn2_saveexec_b32 s0, s1
	s_cbranch_execz .LBB0_6
; %bb.5:                                ;   in Loop: Header=BB0_2 Depth=1
	v_cvt_f32_u32_e32 v4, s20
	s_sub_i32 s1, 0, s20
	v_rcp_iflag_f32_e32 v4, v4
	v_mul_f32_e32 v4, 0x4f7ffffe, v4
	v_cvt_u32_f32_e32 v4, v4
	v_mul_lo_u32 v7, s1, v4
	v_mul_hi_u32 v7, v4, v7
	v_add_nc_u32_e32 v4, v4, v7
	v_mul_hi_u32 v4, v5, v4
	v_mul_lo_u32 v7, v4, s20
	v_add_nc_u32_e32 v8, 1, v4
	v_sub_nc_u32_e32 v7, v5, v7
	v_subrev_nc_u32_e32 v9, s20, v7
	v_cmp_le_u32_e32 vcc_lo, s20, v7
	v_cndmask_b32_e32 v7, v7, v9, vcc_lo
	v_cndmask_b32_e32 v4, v4, v8, vcc_lo
	v_cmp_le_u32_e32 vcc_lo, s20, v7
	v_add_nc_u32_e32 v8, 1, v4
	v_cndmask_b32_e32 v7, v4, v8, vcc_lo
	v_mov_b32_e32 v8, v3
.LBB0_6:                                ;   in Loop: Header=BB0_2 Depth=1
	s_or_b32 exec_lo, exec_lo, s0
	s_load_dwordx2 s[0:1], s[6:7], 0x0
	v_mul_lo_u32 v4, v8, s20
	v_mul_lo_u32 v11, v7, s21
	v_mad_u64_u32 v[9:10], null, v7, s20, 0
	s_add_u32 s18, s18, 1
	s_addc_u32 s19, s19, 0
	s_add_u32 s6, s6, 8
	s_addc_u32 s7, s7, 0
	;; [unrolled: 2-line block ×3, first 2 shown]
	v_add3_u32 v4, v10, v11, v4
	v_sub_co_u32 v5, vcc_lo, v5, v9
	v_sub_co_ci_u32_e32 v4, vcc_lo, v6, v4, vcc_lo
	s_waitcnt lgkmcnt(0)
	v_mul_lo_u32 v6, s1, v5
	v_mul_lo_u32 v4, s0, v4
	v_mad_u64_u32 v[1:2], null, s0, v5, v[1:2]
	v_cmp_ge_u64_e64 s0, s[18:19], s[10:11]
	s_and_b32 vcc_lo, exec_lo, s0
	v_add3_u32 v2, v6, v2, v4
	s_cbranch_vccnz .LBB0_9
; %bb.7:                                ;   in Loop: Header=BB0_2 Depth=1
	v_mov_b32_e32 v5, v7
	v_mov_b32_e32 v6, v8
	s_branch .LBB0_2
.LBB0_8:
	v_mov_b32_e32 v8, v6
	v_mov_b32_e32 v7, v5
.LBB0_9:
	s_lshl_b64 s[0:1], s[10:11], 3
	v_mul_hi_u32 v4, 0x2828283, v0
	s_add_u32 s0, s14, s0
	s_addc_u32 s1, s15, s1
                                        ; implicit-def: $vgpr18
                                        ; implicit-def: $vgpr16
                                        ; implicit-def: $vgpr14
                                        ; implicit-def: $vgpr30
                                        ; implicit-def: $vgpr27
                                        ; implicit-def: $vgpr23
                                        ; implicit-def: $vgpr21
                                        ; implicit-def: $vgpr38
                                        ; implicit-def: $vgpr36
                                        ; implicit-def: $vgpr34
                                        ; implicit-def: $vgpr32
                                        ; implicit-def: $vgpr48
                                        ; implicit-def: $vgpr46
                                        ; implicit-def: $vgpr42
                                        ; implicit-def: $vgpr40
                                        ; implicit-def: $vgpr44
	s_load_dwordx2 s[0:1], s[0:1], 0x0
	s_load_dwordx2 s[4:5], s[4:5], 0x20
	s_waitcnt lgkmcnt(0)
	v_mul_lo_u32 v5, s0, v8
	v_mul_lo_u32 v6, s1, v7
	v_mad_u64_u32 v[2:3], null, s0, v7, v[1:2]
	v_mul_u32_u24_e32 v1, 0x66, v4
	v_cmp_gt_u64_e32 vcc_lo, s[4:5], v[7:8]
	v_sub_nc_u32_e32 v56, v0, v1
	v_add3_u32 v3, v6, v3, v5
	v_mov_b32_e32 v1, 0
	v_mov_b32_e32 v0, 0
	v_cmp_gt_u32_e64 s0, 0x60, v56
	v_lshlrev_b64 v[24:25], 3, v[2:3]
	s_and_b32 s1, vcc_lo, s0
	s_and_saveexec_b32 s4, s1
	s_cbranch_execz .LBB0_11
; %bb.10:
	v_add_nc_u32_e32 v8, 0x60, v56
	v_add_nc_u32_e32 v9, 0xc0, v56
	v_mad_u64_u32 v[0:1], null, s2, v56, 0
	v_add_nc_u32_e32 v10, 0x120, v56
	v_mad_u64_u32 v[2:3], null, s2, v8, 0
	v_mad_u64_u32 v[4:5], null, s2, v9, 0
	v_or_b32_e32 v12, 0x180, v56
	v_add_nc_u32_e32 v13, 0x1e0, v56
	v_add_co_u32 v28, s1, s12, v24
	v_mad_u64_u32 v[6:7], null, s3, v56, v[1:2]
	v_mov_b32_e32 v1, v3
	v_mov_b32_e32 v3, v5
	v_mad_u64_u32 v[19:20], null, s2, v13, 0
	v_add_co_ci_u32_e64 v49, s1, s13, v25, s1
	v_mad_u64_u32 v[7:8], null, s3, v8, v[1:2]
	v_mov_b32_e32 v1, v6
	v_mad_u64_u32 v[5:6], null, s3, v9, v[3:4]
	v_mad_u64_u32 v[8:9], null, s2, v10, 0
	v_lshlrev_b64 v[0:1], 3, v[0:1]
	v_mov_b32_e32 v3, v7
	v_add_nc_u32_e32 v35, 0x3c0, v56
	v_lshlrev_b64 v[4:5], 3, v[4:5]
	v_mov_b32_e32 v6, v9
	v_lshlrev_b64 v[2:3], 3, v[2:3]
	v_add_co_u32 v0, s1, v28, v0
	v_add_co_ci_u32_e64 v1, s1, v49, v1, s1
	v_mad_u64_u32 v[6:7], null, s3, v10, v[6:7]
	v_mad_u64_u32 v[10:11], null, s2, v12, 0
	v_add_co_u32 v2, s1, v28, v2
	v_mov_b32_e32 v7, v20
	v_add_co_ci_u32_e64 v3, s1, v49, v3, s1
	v_mov_b32_e32 v9, v6
	v_mov_b32_e32 v6, v11
	v_add_co_u32 v4, s1, v28, v4
	v_add_co_ci_u32_e64 v5, s1, v49, v5, s1
	v_lshlrev_b64 v[8:9], 3, v[8:9]
	v_mad_u64_u32 v[11:12], null, s3, v12, v[6:7]
	v_add_nc_u32_e32 v12, 0x2a0, v56
	v_mad_u64_u32 v[33:34], null, s2, v35, 0
	v_mad_u64_u32 v[6:7], null, s3, v13, v[7:8]
	v_add_co_u32 v7, s1, v28, v8
	v_add_co_ci_u32_e64 v8, s1, v49, v9, s1
	s_clause 0x3
	global_load_dwordx2 v[0:1], v[0:1], off
	global_load_dwordx2 v[17:18], v[2:3], off
	;; [unrolled: 1-line block ×4, first 2 shown]
	v_add_nc_u32_e32 v9, 0x240, v56
	v_mov_b32_e32 v20, v6
	v_mad_u64_u32 v[26:27], null, s2, v12, 0
	v_lshlrev_b64 v[2:3], 3, v[10:11]
	v_mad_u64_u32 v[21:22], null, s2, v9, 0
	v_lshlrev_b64 v[5:6], 3, v[19:20]
	v_or_b32_e32 v19, 0x300, v56
	v_mov_b32_e32 v7, v27
	v_add_co_u32 v2, s1, v28, v2
	v_mov_b32_e32 v4, v22
	v_add_co_ci_u32_e64 v3, s1, v49, v3, s1
	v_mad_u64_u32 v[8:9], null, s3, v9, v[4:5]
	v_add_co_u32 v4, s1, v28, v5
	v_add_co_ci_u32_e64 v5, s1, v49, v6, s1
	v_mad_u64_u32 v[9:10], null, s3, v12, v[7:8]
	v_mad_u64_u32 v[10:11], null, s2, v19, 0
	v_mov_b32_e32 v22, v8
	v_mov_b32_e32 v27, v9
	v_lshlrev_b64 v[7:8], 3, v[21:22]
	v_add_nc_u32_e32 v21, 0x360, v56
	v_mov_b32_e32 v6, v11
	v_lshlrev_b64 v[11:12], 3, v[26:27]
	v_mad_u64_u32 v[31:32], null, s2, v21, 0
	v_mad_u64_u32 v[19:20], null, s3, v19, v[6:7]
	v_add_co_u32 v6, s1, v28, v7
	v_add_co_ci_u32_e64 v7, s1, v49, v8, s1
	v_add_co_u32 v8, s1, v28, v11
	v_add_co_ci_u32_e64 v9, s1, v49, v12, s1
	v_mov_b32_e32 v12, v32
	v_mov_b32_e32 v11, v19
	s_waitcnt vmcnt(0)
	v_mad_u64_u32 v[19:20], null, s3, v21, v[12:13]
	v_add_nc_u32_e32 v12, 0x420, v56
	s_clause 0x3
	global_load_dwordx2 v[29:30], v[2:3], off
	global_load_dwordx2 v[26:27], v[4:5], off
	;; [unrolled: 1-line block ×4, first 2 shown]
	v_mov_b32_e32 v4, v34
	v_lshlrev_b64 v[2:3], 3, v[10:11]
	v_mad_u64_u32 v[5:6], null, s2, v12, 0
	v_mov_b32_e32 v32, v19
	v_or_b32_e32 v19, 0x480, v56
	v_add_co_u32 v2, s1, v28, v2
	v_add_co_ci_u32_e64 v3, s1, v49, v3, s1
	v_mad_u64_u32 v[7:8], null, s3, v35, v[4:5]
	v_mov_b32_e32 v4, v6
	v_lshlrev_b64 v[8:9], 3, v[31:32]
	v_mad_u64_u32 v[10:11], null, s2, v19, 0
	v_mov_b32_e32 v34, v7
	v_mad_u64_u32 v[6:7], null, s3, v12, v[4:5]
	v_add_co_u32 v7, s1, v28, v8
	v_add_co_ci_u32_e64 v8, s1, v49, v9, s1
	v_add_nc_u32_e32 v9, 0x4e0, v56
	v_lshlrev_b64 v[31:32], 3, v[33:34]
	v_add_nc_u32_e32 v33, 0x540, v56
	v_lshlrev_b64 v[5:6], 3, v[5:6]
	v_mov_b32_e32 v4, v11
	v_mad_u64_u32 v[39:40], null, s2, v9, 0
	v_add_co_u32 v31, s1, v28, v31
	v_mad_u64_u32 v[41:42], null, s2, v33, 0
	v_add_co_ci_u32_e64 v32, s1, v49, v32, s1
	v_mad_u64_u32 v[11:12], null, s3, v19, v[4:5]
	v_mov_b32_e32 v4, v40
	v_add_co_u32 v5, s1, v28, v5
	v_add_nc_u32_e32 v12, 0x5a0, v56
	v_add_co_ci_u32_e64 v6, s1, v49, v6, s1
	v_mad_u64_u32 v[43:44], null, s3, v9, v[4:5]
	v_mov_b32_e32 v4, v42
	v_or_b32_e32 v9, 0x600, v56
	v_mad_u64_u32 v[44:45], null, s2, v12, 0
	v_mad_u64_u32 v[46:47], null, s3, v33, v[4:5]
	;; [unrolled: 1-line block ×3, first 2 shown]
	s_clause 0x3
	global_load_dwordx2 v[37:38], v[2:3], off
	global_load_dwordx2 v[35:36], v[7:8], off
	;; [unrolled: 1-line block ×4, first 2 shown]
	v_lshlrev_b64 v[3:4], 3, v[10:11]
	v_mov_b32_e32 v2, v45
	v_mov_b32_e32 v40, v43
	;; [unrolled: 1-line block ×3, first 2 shown]
	v_mad_u64_u32 v[5:6], null, s3, v12, v[2:3]
	v_mov_b32_e32 v2, v48
	v_add_co_u32 v3, s1, v28, v3
	v_lshlrev_b64 v[6:7], 3, v[39:40]
	v_add_co_ci_u32_e64 v4, s1, v49, v4, s1
	v_mad_u64_u32 v[8:9], null, s3, v9, v[2:3]
	v_lshlrev_b64 v[9:10], 3, v[41:42]
	v_mov_b32_e32 v45, v5
	v_add_co_u32 v5, s1, v28, v6
	v_add_co_ci_u32_e64 v6, s1, v49, v7, s1
	v_mov_b32_e32 v48, v8
	v_lshlrev_b64 v[11:12], 3, v[44:45]
	v_add_co_u32 v7, s1, v28, v9
	v_add_co_ci_u32_e64 v8, s1, v49, v10, s1
	v_lshlrev_b64 v[9:10], 3, v[47:48]
	v_add_co_u32 v11, s1, v28, v11
	v_add_co_ci_u32_e64 v12, s1, v49, v12, s1
	v_add_co_u32 v9, s1, v28, v9
	v_add_co_ci_u32_e64 v10, s1, v49, v10, s1
	s_clause 0x4
	global_load_dwordx2 v[47:48], v[3:4], off
	global_load_dwordx2 v[45:46], v[5:6], off
	;; [unrolled: 1-line block ×5, first 2 shown]
.LBB0_11:
	s_or_b32 exec_lo, exec_lo, s4
	s_waitcnt vmcnt(0)
	v_add_f32_e32 v57, v17, v39
	v_sub_f32_e32 v50, v18, v40
	v_add_f32_e32 v61, v15, v43
	v_sub_f32_e32 v59, v16, v44
	v_add_f32_e32 v19, v13, v41
	v_mul_f32_e32 v51, 0x3f6eb680, v57
	v_sub_f32_e32 v54, v14, v42
	v_mul_f32_e32 v60, 0x3f3d2fb0, v61
	v_add_f32_e32 v7, v29, v45
	v_mul_f32_e32 v55, 0x3ee437d1, v19
	v_fmamk_f32 v2, v50, 0xbeb8f4ab, v51
	v_sub_f32_e32 v52, v30, v46
	v_fmamk_f32 v3, v59, 0xbf2c7751, v60
	v_add_f32_e32 v5, v26, v47
	v_mul_f32_e32 v53, 0x3dbcf732, v7
	v_add_f32_e32 v2, v0, v2
	v_fmamk_f32 v4, v54, 0xbf65296c, v55
	v_sub_f32_e32 v28, v27, v48
	v_mul_f32_e32 v49, 0xbe8c1d8e, v5
	v_fmamk_f32 v6, v52, 0xbf7ee86f, v53
	v_add_f32_e32 v2, v2, v3
	v_add_f32_e32 v3, v22, v31
	v_sub_f32_e32 v10, v23, v32
	v_fmamk_f32 v8, v28, 0xbf763a35, v49
	v_sub_f32_e32 v12, v21, v34
	v_add_f32_e32 v2, v4, v2
	v_add_f32_e32 v4, v20, v33
	v_mul_f32_e32 v11, 0xbf1a4643, v3
	v_add_f32_e32 v2, v6, v2
	v_mul_f32_e32 v6, 0xbf59a7d5, v4
	v_fmamk_f32 v9, v10, 0xbf4c4adb, v11
	v_add_f32_e32 v58, v8, v2
	v_add_f32_e32 v2, v37, v35
	v_sub_f32_e32 v8, v38, v36
	v_fmamk_f32 v62, v12, 0xbf06c442, v6
	v_add_f32_e32 v58, v9, v58
	v_mul_f32_e32 v9, 0xbf7ba420, v2
	v_add_f32_e32 v58, v62, v58
	v_fmamk_f32 v62, v8, 0xbe3c28d5, v9
	v_add_f32_e32 v58, v62, v58
	s_and_saveexec_b32 s1, s0
	s_cbranch_execz .LBB0_13
; %bb.12:
	v_mul_f32_e32 v62, 0xbe3c28d5, v50
	v_mul_f32_e32 v63, 0x3eb8f4ab, v59
	;; [unrolled: 1-line block ×5, first 2 shown]
	v_fmamk_f32 v67, v57, 0xbf7ba420, v62
	v_fma_f32 v62, 0xbf7ba420, v57, -v62
	v_fmamk_f32 v70, v61, 0x3f6eb680, v63
	v_fma_f32 v63, 0x3f6eb680, v61, -v63
	v_fmamk_f32 v72, v19, 0xbf59a7d5, v66
	v_add_f32_e32 v67, v0, v67
	v_add_f32_e32 v62, v0, v62
	v_mul_f32_e32 v65, 0x3f65296c, v59
	v_mul_f32_e32 v69, 0xbf4c4adb, v28
	v_fmamk_f32 v71, v57, 0xbf59a7d5, v64
	v_add_f32_e32 v67, v67, v70
	v_fma_f32 v66, 0xbf59a7d5, v19, -v66
	v_add_f32_e32 v62, v62, v63
	v_fmamk_f32 v63, v7, 0x3f3d2fb0, v68
	v_fmamk_f32 v70, v61, 0x3ee437d1, v65
	v_add_f32_e32 v67, v72, v67
	v_fma_f32 v68, 0x3f3d2fb0, v7, -v68
	v_fmamk_f32 v72, v5, 0xbf1a4643, v69
	v_add_f32_e32 v62, v66, v62
	v_add_f32_e32 v66, v0, v71
	;; [unrolled: 1-line block ×3, first 2 shown]
	v_mul_f32_e32 v67, 0x3f65296c, v10
	v_fma_f32 v69, 0xbf1a4643, v5, -v69
	v_add_f32_e32 v62, v68, v62
	v_add_f32_e32 v66, v66, v70
	v_add_f32_e32 v63, v72, v63
	v_fmamk_f32 v68, v3, 0x3ee437d1, v67
	v_mul_f32_e32 v70, 0xbf7ee86f, v54
	v_add_f32_e32 v62, v69, v62
	v_fma_f32 v67, 0x3ee437d1, v3, -v67
	v_mul_f32_e32 v69, 0xbf763a35, v12
	v_add_f32_e32 v63, v68, v63
	v_fmamk_f32 v68, v19, 0x3dbcf732, v70
	v_mul_f32_e32 v71, 0x3f4c4adb, v52
	v_add_f32_e32 v62, v67, v62
	v_fmamk_f32 v67, v4, 0xbe8c1d8e, v69
	v_mul_f32_e32 v73, 0xbeb8f4ab, v28
	v_add_f32_e32 v66, v68, v66
	v_fmamk_f32 v68, v7, 0xbf1a4643, v71
	v_mul_f32_e32 v72, 0x3f7ee86f, v8
	v_add_f32_e32 v63, v67, v63
	v_fma_f32 v67, 0xbe8c1d8e, v4, -v69
	v_mul_f32_e32 v74, 0xbe3c28d5, v10
	v_add_f32_e32 v66, v68, v66
	v_fmamk_f32 v68, v5, 0x3f6eb680, v73
	v_fmamk_f32 v69, v2, 0x3dbcf732, v72
	v_add_f32_e32 v62, v67, v62
	v_fma_f32 v64, 0xbf59a7d5, v57, -v64
	v_fmamk_f32 v67, v3, 0xbf7ba420, v74
	v_add_f32_e32 v66, v68, v66
	v_mul_f32_e32 v68, 0x3f2c7751, v12
	v_add_f32_e32 v63, v69, v63
	v_add_f32_e32 v64, v0, v64
	v_fma_f32 v65, 0x3ee437d1, v61, -v65
	v_fma_f32 v69, 0x3dbcf732, v2, -v72
	v_add_f32_e32 v66, v67, v66
	v_fmamk_f32 v67, v4, 0x3f3d2fb0, v68
	v_mul_f32_e32 v72, 0xbf4c4adb, v50
	v_add_f32_e32 v64, v64, v65
	v_fma_f32 v65, 0x3dbcf732, v19, -v70
	v_add_f32_e32 v62, v69, v62
	v_add_f32_e32 v66, v67, v66
	v_fmamk_f32 v67, v57, 0xbf1a4643, v72
	v_mul_f32_e32 v69, 0x3f763a35, v59
	v_add_f32_e32 v64, v65, v64
	v_fma_f32 v65, 0xbf1a4643, v7, -v71
	v_mul_f32_e32 v70, 0xbf763a35, v8
	v_add_f32_e32 v67, v0, v67
	v_fmamk_f32 v71, v61, 0xbe8c1d8e, v69
	v_mul_f32_e32 v75, 0xbeb8f4ab, v54
	v_add_f32_e32 v64, v65, v64
	v_fma_f32 v65, 0x3f6eb680, v5, -v73
	v_fmamk_f32 v73, v2, 0xbe8c1d8e, v70
	v_add_f32_e32 v67, v67, v71
	v_fmamk_f32 v71, v19, 0x3f6eb680, v75
	v_mul_f32_e32 v76, 0xbf06c442, v52
	v_add_f32_e32 v64, v65, v64
	v_fma_f32 v65, 0xbf7ba420, v3, -v74
	v_add_f32_e32 v66, v73, v66
	v_add_f32_e32 v67, v71, v67
	v_fmamk_f32 v71, v7, 0xbf59a7d5, v76
	v_mul_f32_e32 v73, 0x3f7ee86f, v28
	v_add_f32_e32 v64, v65, v64
	v_fma_f32 v65, 0xbf1a4643, v57, -v72
	v_fma_f32 v68, 0x3f3d2fb0, v4, -v68
	v_add_f32_e32 v67, v71, v67
	v_fmamk_f32 v71, v5, 0x3dbcf732, v73
	v_mul_f32_e32 v72, 0xbf2c7751, v10
	v_add_f32_e32 v65, v0, v65
	v_fma_f32 v69, 0xbe8c1d8e, v61, -v69
	v_add_f32_e32 v64, v68, v64
	v_add_f32_e32 v67, v71, v67
	v_fmamk_f32 v68, v3, 0x3f3d2fb0, v72
	v_mul_f32_e32 v71, 0xbe3c28d5, v12
	v_add_f32_e32 v65, v65, v69
	v_fma_f32 v69, 0x3f6eb680, v19, -v75
	v_fma_f32 v70, 0xbe8c1d8e, v2, -v70
	v_add_f32_e32 v67, v68, v67
	v_fmamk_f32 v68, v4, 0xbf7ba420, v71
	v_mul_f32_e32 v74, 0xbf763a35, v50
	v_add_f32_e32 v65, v69, v65
	v_fma_f32 v69, 0xbf59a7d5, v7, -v76
	v_add_f32_e32 v64, v70, v64
	v_add_f32_e32 v67, v68, v67
	v_fmamk_f32 v68, v57, 0xbe8c1d8e, v74
	v_mul_f32_e32 v70, 0x3f06c442, v59
	v_add_f32_e32 v65, v69, v65
	v_fma_f32 v69, 0x3dbcf732, v5, -v73
	v_mul_f32_e32 v73, 0x3f65296c, v8
	v_add_f32_e32 v68, v0, v68
	v_fmamk_f32 v75, v61, 0xbf59a7d5, v70
	v_mul_f32_e32 v76, 0x3f2c7751, v54
	v_add_f32_e32 v65, v69, v65
	v_fma_f32 v69, 0x3f3d2fb0, v3, -v72
	v_fmamk_f32 v72, v2, 0x3ee437d1, v73
	v_add_f32_e32 v68, v68, v75
	v_fmamk_f32 v75, v19, 0x3f3d2fb0, v76
	v_mul_f32_e32 v77, 0xbf65296c, v52
	v_add_f32_e32 v65, v69, v65
	v_fma_f32 v69, 0xbf7ba420, v4, -v71
	v_add_f32_e32 v67, v72, v67
	v_add_f32_e32 v68, v75, v68
	v_fmamk_f32 v71, v7, 0x3ee437d1, v77
	v_mul_f32_e32 v72, 0xbe3c28d5, v28
	v_add_f32_e32 v65, v69, v65
	v_fma_f32 v69, 0x3ee437d1, v2, -v73
	v_fma_f32 v73, 0xbe8c1d8e, v57, -v74
	v_add_f32_e32 v68, v71, v68
	v_fmamk_f32 v71, v5, 0xbf7ba420, v72
	v_mul_f32_e32 v74, 0x3f7ee86f, v10
	v_add_f32_e32 v65, v69, v65
	v_add_f32_e32 v69, v0, v73
	v_fma_f32 v70, 0xbf59a7d5, v61, -v70
	v_add_f32_e32 v68, v71, v68
	v_fmamk_f32 v71, v3, 0x3dbcf732, v74
	v_mul_f32_e32 v73, 0xbf7ee86f, v50
	v_mul_f32_e32 v79, 0x3f763a35, v54
	v_add_f32_e32 v69, v69, v70
	v_fma_f32 v70, 0x3f3d2fb0, v19, -v76
	v_add_f32_e32 v68, v71, v68
	v_fmamk_f32 v71, v57, 0x3dbcf732, v73
	v_mul_f32_e32 v76, 0xbe3c28d5, v59
	v_mul_f32_e32 v75, 0xbeb8f4ab, v12
	v_add_f32_e32 v69, v70, v69
	v_fma_f32 v70, 0x3ee437d1, v7, -v77
	v_add_f32_e32 v71, v0, v71
	v_fmamk_f32 v77, v61, 0xbf7ba420, v76
	v_fmamk_f32 v78, v4, 0x3f6eb680, v75
	v_fma_f32 v73, 0x3dbcf732, v57, -v73
	v_add_f32_e32 v69, v70, v69
	v_fma_f32 v70, 0xbf7ba420, v5, -v72
	v_add_f32_e32 v71, v71, v77
	v_fmamk_f32 v72, v19, 0xbe8c1d8e, v79
	v_mul_f32_e32 v77, 0x3eb8f4ab, v52
	v_add_f32_e32 v68, v78, v68
	v_add_f32_e32 v69, v70, v69
	v_fma_f32 v70, 0x3dbcf732, v3, -v74
	v_add_f32_e32 v71, v72, v71
	v_fmamk_f32 v72, v7, 0x3f6eb680, v77
	v_mul_f32_e32 v74, 0xbf65296c, v28
	v_mul_f32_e32 v78, 0xbf4c4adb, v8
	v_add_f32_e32 v69, v70, v69
	v_fma_f32 v70, 0x3f6eb680, v4, -v75
	v_add_f32_e32 v71, v72, v71
	v_fmamk_f32 v72, v5, 0x3ee437d1, v74
	v_mul_f32_e32 v75, 0xbf06c442, v10
	v_fmamk_f32 v80, v2, 0xbf1a4643, v78
	v_add_f32_e32 v69, v70, v69
	v_add_f32_e32 v73, v0, v73
	;; [unrolled: 1-line block ×3, first 2 shown]
	v_fmamk_f32 v71, v3, 0xbf59a7d5, v75
	v_mul_f32_e32 v72, 0x3f4c4adb, v12
	v_add_f32_e32 v68, v80, v68
	v_fma_f32 v76, 0xbf7ba420, v61, -v76
	v_fma_f32 v78, 0xbf1a4643, v2, -v78
	v_add_f32_e32 v70, v71, v70
	v_fmamk_f32 v71, v4, 0xbf1a4643, v72
	v_mul_f32_e32 v80, 0x3f2c7751, v8
	v_add_f32_e32 v73, v73, v76
	v_fma_f32 v76, 0xbe8c1d8e, v19, -v79
	v_add_f32_e32 v69, v78, v69
	v_mul_f32_e32 v78, 0xbf65296c, v50
	v_add_f32_e32 v70, v71, v70
	v_fmamk_f32 v71, v2, 0x3f3d2fb0, v80
	v_add_f32_e32 v73, v76, v73
	v_fma_f32 v76, 0x3f6eb680, v7, -v77
	v_fmamk_f32 v77, v57, 0x3ee437d1, v78
	v_mul_f32_e32 v79, 0xbf4c4adb, v59
	v_add_f32_e32 v70, v71, v70
	v_fma_f32 v71, 0x3ee437d1, v57, -v78
	v_add_f32_e32 v73, v76, v73
	v_add_f32_e32 v76, v0, v77
	v_fmamk_f32 v77, v61, 0xbf1a4643, v79
	v_mul_f32_e32 v78, 0x3e3c28d5, v54
	v_add_f32_e32 v71, v0, v71
	v_fma_f32 v79, 0xbf1a4643, v61, -v79
	v_fma_f32 v74, 0x3ee437d1, v5, -v74
	v_add_f32_e32 v76, v76, v77
	v_fmamk_f32 v77, v19, 0xbf7ba420, v78
	v_mul_f32_e32 v81, 0x3f763a35, v52
	v_add_f32_e32 v71, v71, v79
	v_fma_f32 v78, 0xbf7ba420, v19, -v78
	v_add_f32_e32 v73, v74, v73
	v_add_f32_e32 v74, v77, v76
	v_fmamk_f32 v76, v7, 0xbe8c1d8e, v81
	v_mul_f32_e32 v77, 0x3f2c7751, v28
	v_add_f32_e32 v71, v78, v71
	v_fma_f32 v78, 0xbe8c1d8e, v7, -v81
	v_fma_f32 v75, 0xbf59a7d5, v3, -v75
	v_add_f32_e32 v74, v76, v74
	v_fmamk_f32 v76, v5, 0x3f3d2fb0, v77
	v_mul_f32_e32 v79, 0xbeb8f4ab, v10
	v_add_f32_e32 v71, v78, v71
	v_fma_f32 v77, 0x3f3d2fb0, v5, -v77
	v_add_f32_e32 v73, v75, v73
	v_add_f32_e32 v74, v76, v74
	v_fmamk_f32 v75, v3, 0x3f6eb680, v79
	v_fma_f32 v72, 0xbf1a4643, v4, -v72
	v_add_f32_e32 v71, v77, v71
	v_mul_f32_e32 v77, 0xbf7ee86f, v12
	v_fma_f32 v76, 0x3f6eb680, v3, -v79
	v_add_f32_e32 v74, v75, v74
	v_add_f32_e32 v72, v72, v73
	v_mul_f32_e32 v73, 0xbf2c7751, v50
	v_fma_f32 v75, 0x3dbcf732, v4, -v77
	v_fmamk_f32 v77, v4, 0x3dbcf732, v77
	v_mul_f32_e32 v79, 0xbf7ee86f, v59
	v_mul_f32_e32 v50, 0xbeb8f4ab, v50
	v_fmamk_f32 v78, v57, 0x3f3d2fb0, v73
	v_fma_f32 v57, 0x3f3d2fb0, v57, -v73
	v_add_f32_e32 v74, v77, v74
	v_add_f32_e32 v77, v0, v17
	v_fmamk_f32 v81, v61, 0x3dbcf732, v79
	v_fma_f32 v61, 0x3dbcf732, v61, -v79
	v_add_f32_e32 v57, v0, v57
	v_sub_f32_e32 v50, v51, v50
	v_add_f32_e32 v73, v77, v15
	v_add_f32_e32 v78, v0, v78
	v_mul_f32_e32 v82, 0xbf4c4adb, v54
	v_add_f32_e32 v51, v57, v61
	v_mul_f32_e32 v59, 0xbf2c7751, v59
	v_add_f32_e32 v73, v73, v13
	v_add_f32_e32 v0, v0, v50
	v_mul_f32_e32 v50, 0xbf65296c, v54
	v_fmamk_f32 v77, v19, 0xbf1a4643, v82
	v_sub_f32_e32 v59, v60, v59
	v_add_f32_e32 v57, v73, v29
	v_fma_f32 v19, 0xbf1a4643, v19, -v82
	v_mul_f32_e32 v60, 0xbe3c28d5, v52
	v_sub_f32_e32 v50, v55, v50
	v_add_f32_e32 v0, v0, v59
	v_add_f32_e32 v54, v57, v26
	;; [unrolled: 1-line block ×3, first 2 shown]
	v_mul_f32_e32 v51, 0xbf7ee86f, v52
	v_fmamk_f32 v57, v7, 0xbf7ba420, v60
	v_fma_f32 v7, 0xbf7ba420, v7, -v60
	v_add_f32_e32 v54, v54, v22
	v_add_f32_e32 v0, v50, v0
	v_sub_f32_e32 v50, v53, v51
	v_add_f32_e32 v71, v76, v71
	v_mul_f32_e32 v76, 0xbf06c442, v8
	v_add_f32_e32 v52, v54, v20
	v_mul_f32_e32 v55, 0x3f06c442, v28
	;; [unrolled: 2-line block ×3, first 2 shown]
	v_add_f32_e32 v71, v75, v71
	v_add_f32_e32 v51, v52, v37
	v_fma_f32 v75, 0xbf59a7d5, v2, -v76
	v_fmamk_f32 v54, v5, 0xbf59a7d5, v55
	v_fma_f32 v5, 0xbf59a7d5, v5, -v55
	v_mul_f32_e32 v53, 0x3f763a35, v10
	v_add_f32_e32 v28, v51, v35
	v_add_f32_e32 v71, v75, v71
	v_add_f32_e32 v75, v78, v81
	v_add_f32_e32 v5, v5, v7
	v_mul_f32_e32 v7, 0xbf4c4adb, v10
	v_add_f32_e32 v28, v28, v33
	v_fmamk_f32 v51, v3, 0xbe8c1d8e, v53
	v_add_f32_e32 v75, v77, v75
	v_add_f32_e32 v0, v50, v0
	v_sub_f32_e32 v19, v49, v19
	v_add_f32_e32 v10, v28, v31
	v_fma_f32 v3, 0xbe8c1d8e, v3, -v53
	v_add_f32_e32 v57, v57, v75
	v_mul_f32_e32 v49, 0x3f65296c, v12
	v_add_f32_e32 v0, v19, v0
	v_add_f32_e32 v10, v10, v47
	v_sub_f32_e32 v7, v11, v7
	v_mul_f32_e32 v12, 0xbf06c442, v12
	v_add_f32_e32 v3, v3, v5
	v_add_f32_e32 v52, v54, v57
	;; [unrolled: 1-line block ×4, first 2 shown]
	v_sub_f32_e32 v6, v6, v12
	v_mul_f32_e32 v7, 0xbe3c28d5, v8
	v_fmamk_f32 v28, v4, 0x3ee437d1, v49
	v_add_f32_e32 v5, v5, v41
	v_fma_f32 v4, 0x3ee437d1, v4, -v49
	v_mul_f32_e32 v8, 0x3eb8f4ab, v8
	v_add_f32_e32 v50, v51, v52
	v_add_f32_e32 v0, v6, v0
	v_sub_f32_e32 v6, v9, v7
	v_add_f32_e32 v5, v5, v43
	v_add_f32_e32 v3, v4, v3
	v_fma_f32 v4, 0x3f6eb680, v2, -v8
	v_fma_f32 v10, 0x3f3d2fb0, v2, -v80
	v_add_f32_e32 v11, v28, v50
	v_fmamk_f32 v12, v2, 0xbf59a7d5, v76
	v_fmamk_f32 v2, v2, 0x3f6eb680, v8
	v_add_f32_e32 v0, v6, v0
	v_add_f32_e32 v5, v39, v5
	v_mad_u32_u24 v6, 0x44, v56, 0
	v_add_f32_e32 v3, v4, v3
	v_add_f32_e32 v4, v10, v72
	;; [unrolled: 1-line block ×4, first 2 shown]
	ds_write2_b32 v6, v5, v0 offset1:1
	ds_write2_b32 v6, v3, v71 offset0:2 offset1:3
	ds_write2_b32 v6, v4, v69 offset0:4 offset1:5
	;; [unrolled: 1-line block ×7, first 2 shown]
	ds_write_b32 v6, v58 offset:64
.LBB0_13:
	s_or_b32 exec_lo, exec_lo, s1
	v_sub_f32_e32 v69, v17, v39
	v_add_f32_e32 v66, v18, v40
	v_sub_f32_e32 v61, v15, v43
	v_add_f32_e32 v60, v16, v44
	v_sub_f32_e32 v55, v13, v41
	v_mul_f32_e32 v68, 0xbeb8f4ab, v69
	v_add_f32_e32 v54, v14, v42
	v_mul_f32_e32 v67, 0xbf2c7751, v61
	v_sub_f32_e32 v52, v29, v45
	v_mul_f32_e32 v62, 0xbf65296c, v55
	v_fma_f32 v0, 0x3f6eb680, v66, -v68
	v_add_f32_e32 v51, v30, v46
	v_fma_f32 v2, 0x3f3d2fb0, v60, -v67
	v_sub_f32_e32 v50, v26, v47
	v_mul_f32_e32 v59, 0xbf7ee86f, v52
	v_add_f32_e32 v0, v1, v0
	v_fma_f32 v3, 0x3ee437d1, v54, -v62
	v_add_f32_e32 v49, v27, v48
	v_mul_f32_e32 v53, 0xbf763a35, v50
	v_lshl_add_u32 v57, v56, 2, 0
	v_add_f32_e32 v0, v0, v2
	v_fma_f32 v2, 0x3dbcf732, v51, -v59
	v_sub_f32_e32 v47, v22, v31
	v_fma_f32 v4, 0xbe8c1d8e, v49, -v53
	v_add_nc_u32_e32 v43, 0xe00, v57
	v_add_f32_e32 v3, v3, v0
	v_add_nc_u32_e32 v64, 0xc00, v57
	v_add_nc_u32_e32 v41, 0x400, v57
	;; [unrolled: 1-line block ×4, first 2 shown]
	v_add_f32_e32 v2, v2, v3
	v_add_f32_e32 v39, v23, v32
	v_sub_f32_e32 v31, v20, v33
	v_sub_f32_e32 v0, v37, v35
	v_mul_f32_e32 v37, 0xbf4c4adb, v47
	v_add_nc_u32_e32 v17, 0x800, v57
	v_add_nc_u32_e32 v65, 0x1400, v57
	s_waitcnt lgkmcnt(0)
	v_add_f32_e32 v33, v4, v2
	s_barrier
	buffer_gl0_inv
	ds_read2_b32 v[2:3], v57 offset1:102
	ds_read2_b32 v[10:11], v64 offset0:48 offset1:150
	ds_read2_b32 v[4:5], v15 offset0:76 offset1:178
	;; [unrolled: 1-line block ×7, first 2 shown]
	v_add_f32_e32 v26, v21, v34
	v_mul_f32_e32 v35, 0xbf06c442, v31
	v_fma_f32 v22, 0xbf1a4643, v39, -v37
	s_waitcnt lgkmcnt(0)
	s_barrier
	buffer_gl0_inv
	v_fma_f32 v70, 0xbf59a7d5, v26, -v35
	v_add_f32_e32 v63, v22, v33
	v_add_f32_e32 v22, v38, v36
	v_mul_f32_e32 v33, 0xbe3c28d5, v0
	v_add_f32_e32 v63, v70, v63
	v_fma_f32 v70, 0xbf7ba420, v22, -v33
	v_add_f32_e32 v63, v70, v63
	s_and_saveexec_b32 s1, s0
	s_cbranch_execz .LBB0_15
; %bb.14:
	v_add_f32_e32 v18, v1, v18
	v_mul_f32_e32 v70, 0x3f6eb680, v66
	v_mul_f32_e32 v77, 0xbf65296c, v69
	;; [unrolled: 1-line block ×4, first 2 shown]
	v_add_f32_e32 v16, v18, v16
	v_mul_f32_e32 v81, 0xbf7ee86f, v61
	v_add_f32_e32 v68, v70, v68
	v_fmamk_f32 v70, v66, 0x3ee437d1, v77
	v_mul_f32_e32 v83, 0x3f06c442, v61
	v_add_f32_e32 v14, v16, v14
	v_mul_f32_e32 v16, 0xbf2c7751, v69
	v_fmamk_f32 v84, v66, 0xbe8c1d8e, v79
	v_add_f32_e32 v67, v71, v67
	v_mul_f32_e32 v78, 0xbf7ee86f, v69
	v_add_f32_e32 v14, v14, v30
	v_mul_f32_e32 v30, 0xbf4c4adb, v69
	v_mul_f32_e32 v80, 0xbf06c442, v69
	;; [unrolled: 1-line block ×3, first 2 shown]
	v_add_f32_e32 v68, v1, v68
	v_add_f32_e32 v14, v14, v27
	v_mul_f32_e32 v27, 0xbf4c4adb, v61
	v_mul_f32_e32 v82, 0xbe3c28d5, v61
	v_fma_f32 v77, 0x3ee437d1, v66, -v77
	v_fma_f32 v79, 0xbe8c1d8e, v66, -v79
	v_add_f32_e32 v14, v14, v23
	v_fmamk_f32 v23, v66, 0x3f3d2fb0, v16
	v_fma_f32 v16, 0x3f3d2fb0, v66, -v16
	v_fmamk_f32 v71, v60, 0xbf1a4643, v27
	v_fmamk_f32 v85, v66, 0xbf59a7d5, v80
	v_add_f32_e32 v14, v14, v21
	v_fmamk_f32 v21, v66, 0x3dbcf732, v78
	v_add_f32_e32 v16, v1, v16
	v_fma_f32 v78, 0x3dbcf732, v66, -v78
	v_fma_f32 v80, 0xbf59a7d5, v66, -v80
	v_add_f32_e32 v14, v14, v38
	v_fmamk_f32 v38, v66, 0xbf1a4643, v30
	v_fma_f32 v30, 0xbf1a4643, v66, -v30
	v_mul_f32_e32 v72, 0x3ee437d1, v54
	v_fma_f32 v27, 0xbf1a4643, v60, -v27
	v_add_f32_e32 v14, v14, v36
	v_fmamk_f32 v36, v66, 0xbf7ba420, v69
	v_fma_f32 v66, 0xbf7ba420, v66, -v69
	v_add_f32_e32 v38, v1, v38
	v_add_f32_e32 v30, v1, v30
	;; [unrolled: 1-line block ×3, first 2 shown]
	v_fma_f32 v34, 0x3dbcf732, v60, -v81
	v_fmamk_f32 v69, v60, 0x3dbcf732, v81
	v_fmamk_f32 v81, v60, 0xbf7ba420, v82
	v_add_f32_e32 v23, v1, v23
	v_add_f32_e32 v14, v14, v32
	;; [unrolled: 1-line block ×3, first 2 shown]
	v_fma_f32 v32, 0xbf7ba420, v60, -v82
	v_add_f32_e32 v21, v1, v21
	v_add_f32_e32 v36, v1, v36
	v_add_f32_e32 v14, v14, v48
	v_add_f32_e32 v48, v1, v70
	v_add_f32_e32 v70, v1, v77
	v_add_f32_e32 v77, v1, v78
	v_add_f32_e32 v78, v1, v79
	v_add_f32_e32 v14, v14, v46
	v_add_f32_e32 v46, v1, v84
	v_add_f32_e32 v34, v48, v71
	v_mul_f32_e32 v48, 0x3f763a35, v61
	v_add_f32_e32 v79, v1, v80
	v_add_f32_e32 v14, v14, v42
	;; [unrolled: 1-line block ×4, first 2 shown]
	v_fma_f32 v66, 0xbf59a7d5, v60, -v83
	v_add_f32_e32 v23, v23, v69
	v_add_f32_e32 v14, v14, v44
	;; [unrolled: 1-line block ×3, first 2 shown]
	v_fmamk_f32 v67, v60, 0xbe8c1d8e, v48
	v_fma_f32 v48, 0xbe8c1d8e, v60, -v48
	v_add_f32_e32 v27, v70, v27
	v_add_f32_e32 v14, v40, v14
	v_fmamk_f32 v40, v60, 0xbf59a7d5, v83
	v_add_f32_e32 v38, v38, v67
	v_add_f32_e32 v30, v30, v48
	v_mul_f32_e32 v67, 0xbf4c4adb, v55
	v_add_f32_e32 v32, v77, v32
	v_add_f32_e32 v40, v46, v40
	v_mul_f32_e32 v46, 0x3f65296c, v61
	v_mul_f32_e32 v61, 0x3eb8f4ab, v61
	v_add_f32_e32 v66, v78, v66
	v_mul_f32_e32 v73, 0x3dbcf732, v51
	v_mul_f32_e32 v18, 0xbe8c1d8e, v49
	v_fmamk_f32 v68, v60, 0x3ee437d1, v46
	v_fma_f32 v46, 0x3ee437d1, v60, -v46
	v_fmamk_f32 v48, v60, 0x3f6eb680, v61
	v_fma_f32 v60, 0x3f6eb680, v60, -v61
	v_fmamk_f32 v61, v54, 0xbf1a4643, v67
	v_add_f32_e32 v42, v42, v68
	v_add_f32_e32 v46, v79, v46
	v_add_f32_e32 v36, v36, v48
	v_add_f32_e32 v48, v72, v62
	v_add_f32_e32 v1, v1, v60
	v_mul_f32_e32 v60, 0x3e3c28d5, v55
	v_fma_f32 v62, 0xbf1a4643, v54, -v67
	v_add_f32_e32 v23, v61, v23
	v_add_f32_e32 v44, v48, v44
	v_mul_f32_e32 v48, 0x3f763a35, v55
	v_fmamk_f32 v61, v54, 0xbf7ba420, v60
	v_add_f32_e32 v16, v62, v16
	v_fma_f32 v60, 0xbf7ba420, v54, -v60
	v_mul_f32_e32 v62, 0x3f2c7751, v55
	v_fmamk_f32 v67, v54, 0xbe8c1d8e, v48
	v_add_f32_e32 v34, v61, v34
	v_fma_f32 v48, 0xbe8c1d8e, v54, -v48
	v_add_f32_e32 v27, v60, v27
	v_fmamk_f32 v60, v54, 0x3f3d2fb0, v62
	v_mul_f32_e32 v61, 0xbeb8f4ab, v55
	v_add_f32_e32 v18, v18, v53
	v_add_f32_e32 v32, v48, v32
	v_fma_f32 v48, 0x3f3d2fb0, v54, -v62
	v_add_f32_e32 v40, v60, v40
	v_mul_f32_e32 v60, 0xbf7ee86f, v55
	v_fmamk_f32 v62, v54, 0x3f6eb680, v61
	v_fma_f32 v61, 0x3f6eb680, v54, -v61
	v_mul_f32_e32 v55, 0xbf06c442, v55
	v_add_f32_e32 v48, v48, v66
	v_fmamk_f32 v66, v54, 0x3dbcf732, v60
	v_add_f32_e32 v38, v62, v38
	v_add_f32_e32 v30, v61, v30
	v_fma_f32 v60, 0x3dbcf732, v54, -v60
	v_fmamk_f32 v61, v54, 0xbf59a7d5, v55
	v_mul_f32_e32 v62, 0xbe3c28d5, v52
	v_fma_f32 v54, 0xbf59a7d5, v54, -v55
	v_add_f32_e32 v55, v73, v59
	v_add_f32_e32 v46, v60, v46
	v_add_f32_e32 v36, v61, v36
	v_fmamk_f32 v59, v51, 0xbf7ba420, v62
	v_add_f32_e32 v1, v54, v1
	v_mul_f32_e32 v54, 0x3f763a35, v52
	v_fma_f32 v60, 0xbf7ba420, v51, -v62
	v_add_f32_e32 v44, v55, v44
	v_add_f32_e32 v23, v59, v23
	v_mul_f32_e32 v55, 0x3eb8f4ab, v52
	v_fmamk_f32 v59, v51, 0xbe8c1d8e, v54
	v_add_f32_e32 v16, v60, v16
	v_fma_f32 v54, 0xbe8c1d8e, v51, -v54
	v_mul_f32_e32 v60, 0xbf65296c, v52
	v_fmamk_f32 v61, v51, 0x3f6eb680, v55
	v_fma_f32 v55, 0x3f6eb680, v51, -v55
	v_add_f32_e32 v34, v59, v34
	v_add_f32_e32 v27, v54, v27
	v_fmamk_f32 v54, v51, 0x3ee437d1, v60
	v_mul_f32_e32 v59, 0xbf06c442, v52
	v_add_f32_e32 v32, v55, v32
	v_fma_f32 v55, 0x3ee437d1, v51, -v60
	v_add_f32_e32 v42, v66, v42
	v_add_f32_e32 v40, v54, v40
	v_mul_f32_e32 v54, 0x3f4c4adb, v52
	v_fmamk_f32 v60, v51, 0xbf59a7d5, v59
	v_fma_f32 v59, 0xbf59a7d5, v51, -v59
	v_add_f32_e32 v48, v55, v48
	v_mul_f32_e32 v52, 0x3f2c7751, v52
	v_fmamk_f32 v55, v51, 0xbf1a4643, v54
	v_fma_f32 v54, 0xbf1a4643, v51, -v54
	v_add_f32_e32 v30, v59, v30
	v_add_f32_e32 v18, v18, v44
	v_fmamk_f32 v59, v51, 0x3f3d2fb0, v52
	v_add_f32_e32 v42, v55, v42
	v_mul_f32_e32 v55, 0x3f06c442, v50
	v_fma_f32 v51, 0x3f3d2fb0, v51, -v52
	v_mul_f32_e32 v44, 0xbf65296c, v50
	v_add_f32_e32 v46, v54, v46
	v_mul_f32_e32 v74, 0xbf1a4643, v39
	v_fmamk_f32 v52, v49, 0xbf59a7d5, v55
	v_add_f32_e32 v1, v51, v1
	v_mul_f32_e32 v51, 0x3f2c7751, v50
	v_fma_f32 v53, 0xbf59a7d5, v49, -v55
	v_fmamk_f32 v54, v49, 0x3ee437d1, v44
	v_add_f32_e32 v23, v52, v23
	v_fma_f32 v44, 0x3ee437d1, v49, -v44
	v_fmamk_f32 v52, v49, 0x3f3d2fb0, v51
	v_add_f32_e32 v16, v53, v16
	v_fma_f32 v51, 0x3f3d2fb0, v49, -v51
	v_mul_f32_e32 v53, 0xbe3c28d5, v50
	v_add_f32_e32 v32, v44, v32
	v_add_f32_e32 v34, v52, v34
	v_mul_f32_e32 v52, 0x3f7ee86f, v50
	v_add_f32_e32 v27, v51, v27
	v_fmamk_f32 v51, v49, 0xbf7ba420, v53
	v_fma_f32 v44, 0xbf7ba420, v49, -v53
	v_add_f32_e32 v21, v21, v81
	v_fmamk_f32 v53, v49, 0x3dbcf732, v52
	v_fma_f32 v52, 0x3dbcf732, v49, -v52
	v_add_f32_e32 v40, v51, v40
	v_mul_f32_e32 v51, 0xbeb8f4ab, v50
	v_add_f32_e32 v44, v44, v48
	v_mul_f32_e32 v48, 0xbf4c4adb, v50
	v_add_f32_e32 v21, v67, v21
	v_add_f32_e32 v30, v52, v30
	v_fmamk_f32 v50, v49, 0x3f6eb680, v51
	v_fma_f32 v51, 0x3f6eb680, v49, -v51
	v_fmamk_f32 v52, v49, 0xbf1a4643, v48
	v_fma_f32 v48, 0xbf1a4643, v49, -v48
	v_mul_f32_e32 v49, 0x3f763a35, v47
	v_add_f32_e32 v37, v74, v37
	v_add_f32_e32 v21, v61, v21
	;; [unrolled: 1-line block ×4, first 2 shown]
	v_fmamk_f32 v48, v39, 0xbe8c1d8e, v49
	v_mul_f32_e32 v50, 0xbeb8f4ab, v47
	v_fma_f32 v49, 0xbe8c1d8e, v39, -v49
	v_add_f32_e32 v18, v37, v18
	v_mul_f32_e32 v37, 0xbf06c442, v47
	v_add_f32_e32 v21, v54, v21
	v_add_f32_e32 v46, v51, v46
	;; [unrolled: 1-line block ×3, first 2 shown]
	v_fmamk_f32 v48, v39, 0x3f6eb680, v50
	v_add_f32_e32 v16, v49, v16
	v_fma_f32 v49, 0x3f6eb680, v39, -v50
	v_fmamk_f32 v50, v39, 0xbf59a7d5, v37
	v_mul_f32_e32 v51, 0x3f7ee86f, v47
	v_fma_f32 v37, 0xbf59a7d5, v39, -v37
	v_add_f32_e32 v38, v60, v38
	v_add_f32_e32 v34, v48, v34
	;; [unrolled: 1-line block ×4, first 2 shown]
	v_fmamk_f32 v48, v39, 0x3dbcf732, v51
	v_mul_f32_e32 v49, 0xbf2c7751, v47
	v_add_f32_e32 v32, v37, v32
	v_fma_f32 v37, 0x3dbcf732, v39, -v51
	v_mul_f32_e32 v50, 0xbe3c28d5, v47
	v_mul_f32_e32 v75, 0xbf59a7d5, v26
	v_add_f32_e32 v36, v59, v36
	v_add_f32_e32 v38, v53, v38
	;; [unrolled: 1-line block ×3, first 2 shown]
	v_fmamk_f32 v48, v39, 0x3f3d2fb0, v49
	v_fma_f32 v49, 0x3f3d2fb0, v39, -v49
	v_add_f32_e32 v37, v37, v44
	v_fmamk_f32 v44, v39, 0xbf7ba420, v50
	v_mul_f32_e32 v47, 0x3f65296c, v47
	v_add_f32_e32 v36, v52, v36
	v_add_f32_e32 v38, v48, v38
	;; [unrolled: 1-line block ×3, first 2 shown]
	v_fma_f32 v48, 0xbf7ba420, v39, -v50
	v_add_f32_e32 v42, v44, v42
	v_fmamk_f32 v44, v39, 0x3ee437d1, v47
	v_mul_f32_e32 v49, 0x3f65296c, v31
	v_fma_f32 v39, 0x3ee437d1, v39, -v47
	v_add_f32_e32 v35, v75, v35
	v_add_f32_e32 v46, v48, v46
	;; [unrolled: 1-line block ×3, first 2 shown]
	v_fmamk_f32 v44, v26, 0x3ee437d1, v49
	v_add_f32_e32 v1, v39, v1
	v_mul_f32_e32 v39, 0xbf7ee86f, v31
	v_add_f32_e32 v18, v35, v18
	v_fma_f32 v35, 0x3ee437d1, v26, -v49
	v_add_f32_e32 v23, v44, v23
	v_mul_f32_e32 v44, 0x3f4c4adb, v31
	v_fmamk_f32 v47, v26, 0x3dbcf732, v39
	v_fma_f32 v39, 0x3dbcf732, v26, -v39
	v_add_f32_e32 v16, v35, v16
	v_mul_f32_e32 v35, 0xbeb8f4ab, v31
	v_fmamk_f32 v48, v26, 0xbf1a4643, v44
	v_add_f32_e32 v34, v47, v34
	v_add_f32_e32 v27, v39, v27
	v_fma_f32 v39, 0xbf1a4643, v26, -v44
	v_fmamk_f32 v44, v26, 0x3f6eb680, v35
	v_mul_f32_e32 v47, 0xbe3c28d5, v31
	v_fma_f32 v35, 0x3f6eb680, v26, -v35
	v_mul_f32_e32 v76, 0xbf7ba420, v22
	v_add_f32_e32 v32, v39, v32
	v_add_f32_e32 v39, v44, v40
	v_mul_f32_e32 v40, 0x3f2c7751, v31
	v_fmamk_f32 v44, v26, 0xbf7ba420, v47
	v_add_f32_e32 v35, v35, v37
	v_fma_f32 v37, 0xbf7ba420, v26, -v47
	v_mul_f32_e32 v31, 0xbf763a35, v31
	v_fmamk_f32 v47, v26, 0x3f3d2fb0, v40
	v_add_f32_e32 v38, v44, v38
	v_fma_f32 v40, 0x3f3d2fb0, v26, -v40
	v_add_f32_e32 v30, v37, v30
	v_fmamk_f32 v37, v26, 0xbe8c1d8e, v31
	v_mul_f32_e32 v44, 0x3eb8f4ab, v0
	v_fma_f32 v26, 0xbe8c1d8e, v26, -v31
	v_add_f32_e32 v33, v76, v33
	v_add_f32_e32 v21, v48, v21
	;; [unrolled: 1-line block ×3, first 2 shown]
	v_fmamk_f32 v36, v22, 0x3f6eb680, v44
	v_mul_f32_e32 v37, 0xbf06c442, v0
	v_add_f32_e32 v1, v26, v1
	v_fma_f32 v26, 0x3f6eb680, v22, -v44
	v_add_f32_e32 v18, v33, v18
	v_add_f32_e32 v23, v36, v23
	v_fmamk_f32 v33, v22, 0xbf59a7d5, v37
	v_mul_f32_e32 v36, 0x3f2c7751, v0
	v_add_f32_e32 v16, v26, v16
	v_fma_f32 v26, 0xbf59a7d5, v22, -v37
	v_mul_f32_e32 v37, 0xbf4c4adb, v0
	v_add_f32_e32 v33, v33, v34
	v_fmamk_f32 v34, v22, 0x3f3d2fb0, v36
	v_fma_f32 v36, 0x3f3d2fb0, v22, -v36
	v_add_f32_e32 v26, v26, v27
	v_fmamk_f32 v27, v22, 0xbf1a4643, v37
	v_mul_f32_e32 v44, 0x3f65296c, v0
	v_add_f32_e32 v21, v34, v21
	v_add_f32_e32 v32, v36, v32
	v_fma_f32 v34, 0xbf1a4643, v22, -v37
	v_add_f32_e32 v27, v27, v39
	v_fmamk_f32 v36, v22, 0x3ee437d1, v44
	v_mul_f32_e32 v39, 0xbf763a35, v0
	v_mul_f32_e32 v0, 0x3f7ee86f, v0
	v_fma_f32 v37, 0x3ee437d1, v22, -v44
	v_add_f32_e32 v42, v47, v42
	v_add_f32_e32 v34, v34, v35
	;; [unrolled: 1-line block ×3, first 2 shown]
	v_fmamk_f32 v36, v22, 0xbe8c1d8e, v39
	v_fmamk_f32 v38, v22, 0x3dbcf732, v0
	v_fma_f32 v0, 0x3dbcf732, v22, -v0
	v_add_f32_e32 v40, v40, v46
	v_add_f32_e32 v30, v37, v30
	v_fma_f32 v37, 0xbe8c1d8e, v22, -v39
	v_lshl_add_u32 v22, v56, 6, v57
	v_add_f32_e32 v36, v36, v42
	v_add_f32_e32 v31, v38, v31
	;; [unrolled: 1-line block ×4, first 2 shown]
	ds_write2_b32 v22, v14, v18 offset1:1
	ds_write2_b32 v22, v23, v33 offset0:2 offset1:3
	ds_write2_b32 v22, v21, v27 offset0:4 offset1:5
	;; [unrolled: 1-line block ×7, first 2 shown]
	ds_write_b32 v22, v63 offset:64
.LBB0_15:
	s_or_b32 exec_lo, exec_lo, s1
	v_add_nc_u32_e32 v59, 0x198, v56
	v_mov_b32_e32 v14, 0xf0f1
	v_add_nc_u32_e32 v66, 0x1fe, v56
	v_add_nc_u32_e32 v60, 0x264, v56
	;; [unrolled: 1-line block ×3, first 2 shown]
	v_mov_b32_e32 v42, 3
	v_mul_u32_u24_sdwa v16, v59, v14 dst_sel:DWORD dst_unused:UNUSED_PAD src0_sel:WORD_0 src1_sel:DWORD
	v_mul_u32_u24_sdwa v18, v66, v14 dst_sel:DWORD dst_unused:UNUSED_PAD src0_sel:WORD_0 src1_sel:DWORD
	;; [unrolled: 1-line block ×4, first 2 shown]
	v_add_nc_u32_e32 v61, 0xcc, v56
	v_lshrrev_b32_e32 v23, 20, v16
	v_lshrrev_b32_e32 v40, 20, v18
	;; [unrolled: 1-line block ×4, first 2 shown]
	v_add_nc_u32_e32 v67, 0x132, v56
	v_mul_lo_u16 v0, v23, 17
	v_mul_lo_u16 v1, v40, 17
	;; [unrolled: 1-line block ×4, first 2 shown]
	v_mul_u32_u24_sdwa v81, v61, v14 dst_sel:DWORD dst_unused:UNUSED_PAD src0_sel:WORD_0 src1_sel:DWORD
	v_sub_nc_u16 v44, v59, v0
	v_sub_nc_u16 v73, v66, v1
	v_add_nc_u32_e32 v62, 0x66, v56
	v_sub_nc_u16 v79, v60, v26
	v_and_b32_e32 v32, 0xff, v56
	v_lshlrev_b32_sdwa v0, v42, v44 dst_sel:DWORD dst_unused:UNUSED_PAD src0_sel:DWORD src1_sel:WORD_0
	v_lshlrev_b32_sdwa v21, v42, v73 dst_sel:DWORD dst_unused:UNUSED_PAD src0_sel:DWORD src1_sel:WORD_0
	v_sub_nc_u16 v80, v74, v27
	s_waitcnt lgkmcnt(0)
	s_barrier
	buffer_gl0_inv
	s_clause 0x1
	global_load_dwordx2 v[0:1], v0, s[8:9]
	global_load_dwordx2 v[21:22], v21, s[8:9]
	v_mul_u32_u24_sdwa v14, v67, v14 dst_sel:DWORD dst_unused:UNUSED_PAD src0_sel:WORD_0 src1_sel:DWORD
	v_lshrrev_b32_e32 v82, 20, v81
	v_and_b32_e32 v68, 0xff, v62
	v_lshlrev_b32_sdwa v26, v42, v79 dst_sel:DWORD dst_unused:UNUSED_PAD src0_sel:DWORD src1_sel:WORD_0
	v_mul_lo_u16 v83, 0xf1, v32
	v_lshlrev_b32_sdwa v30, v42, v80 dst_sel:DWORD dst_unused:UNUSED_PAD src0_sel:DWORD src1_sel:WORD_0
	v_lshrrev_b32_e32 v84, 20, v14
	v_mul_lo_u16 v32, v82, 17
	v_mul_lo_u16 v86, 0xf1, v68
	s_clause 0x1
	global_load_dwordx2 v[26:27], v26, s[8:9]
	global_load_dwordx2 v[30:31], v30, s[8:9]
	v_lshrrev_b16 v85, 12, v83
	v_mul_lo_u16 v33, v84, 17
	v_sub_nc_u16 v87, v61, v32
	v_lshrrev_b16 v88, 12, v86
	v_lshrrev_b32_e32 v81, 21, v81
	v_mul_lo_u16 v32, v85, 17
	v_sub_nc_u16 v89, v67, v33
	v_lshlrev_b32_sdwa v33, v42, v87 dst_sel:DWORD dst_unused:UNUSED_PAD src0_sel:DWORD src1_sel:WORD_0
	v_mul_lo_u16 v34, v88, 17
	v_mul_u32_u24_e32 v23, 0x88, v23
	v_sub_nc_u16 v90, v56, v32
	v_lshlrev_b32_sdwa v35, v42, v89 dst_sel:DWORD dst_unused:UNUSED_PAD src0_sel:DWORD src1_sel:WORD_0
	global_load_dwordx2 v[32:33], v33, s[8:9]
	v_sub_nc_u16 v91, v62, v34
	v_lshrrev_b32_e32 v76, 21, v76
	v_lshlrev_b32_sdwa v36, v42, v90 dst_sel:DWORD dst_unused:UNUSED_PAD src0_sel:DWORD src1_sel:BYTE_0
	s_clause 0x1
	global_load_dwordx2 v[34:35], v35, s[8:9]
	global_load_dwordx2 v[36:37], v36, s[8:9]
	v_lshlrev_b32_sdwa v38, v42, v91 dst_sel:DWORD dst_unused:UNUSED_PAD src0_sel:DWORD src1_sel:BYTE_0
	v_lshrrev_b16 v83, 13, v83
	v_lshrrev_b32_e32 v14, 21, v14
	v_lshrrev_b32_e32 v16, 21, v16
	;; [unrolled: 1-line block ×3, first 2 shown]
	global_load_dwordx2 v[38:39], v38, s[8:9]
	ds_read2_b32 v[46:47], v45 offset0:72 offset1:174
	ds_read2_b32 v[48:49], v65 offset0:148 offset1:250
	;; [unrolled: 1-line block ×3, first 2 shown]
	ds_read2_b32 v[52:53], v57 offset1:102
	ds_read2_b32 v[54:55], v64 offset0:48 offset1:150
	ds_read2_b32 v[69:70], v15 offset0:76 offset1:178
	;; [unrolled: 1-line block ×3, first 2 shown]
	v_lshrrev_b32_e32 v75, 21, v75
	v_mul_u32_u24_e32 v82, 0x88, v82
	v_mul_u32_u24_e32 v84, 0x88, v84
	;; [unrolled: 1-line block ×5, first 2 shown]
	v_cmp_gt_u32_e64 s0, 34, v56
	s_waitcnt vmcnt(7) lgkmcnt(6)
	v_mul_f32_e32 v92, v46, v1
	s_waitcnt vmcnt(6)
	v_mul_f32_e32 v94, v47, v22
	v_mul_f32_e32 v22, v29, v22
	;; [unrolled: 1-line block ×3, first 2 shown]
	v_fma_f32 v28, v28, v0, -v92
	v_fma_f32 v92, v29, v21, -v94
	v_fmac_f32_e32 v22, v47, v21
	v_fmac_f32_e32 v93, v46, v0
	v_mov_b32_e32 v46, 0x88
	s_waitcnt vmcnt(5) lgkmcnt(5)
	v_mul_f32_e32 v21, v48, v27
	v_mul_f32_e32 v27, v19, v27
	v_mov_b32_e32 v94, 2
	ds_read2_b32 v[0:1], v17 offset0:100 offset1:202
	v_mul_u32_u24_sdwa v29, v85, v46 dst_sel:DWORD dst_unused:UNUSED_PAD src0_sel:WORD_0 src1_sel:DWORD
	v_fma_f32 v19, v19, v26, -v21
	v_fmac_f32_e32 v27, v48, v26
	v_mul_lo_u16 v26, v81, 34
	v_mul_u32_u24_sdwa v46, v88, v46 dst_sel:DWORD dst_unused:UNUSED_PAD src0_sel:WORD_0 src1_sel:DWORD
	v_lshlrev_b32_sdwa v44, v94, v44 dst_sel:DWORD dst_unused:UNUSED_PAD src0_sel:DWORD src1_sel:WORD_0
	v_lshrrev_b16 v85, 13, v86
	s_waitcnt vmcnt(4)
	v_mul_f32_e32 v86, v49, v31
	v_sub_nc_u16 v88, v61, v26
	v_lshlrev_b32_sdwa v26, v94, v90 dst_sel:DWORD dst_unused:UNUSED_PAD src0_sel:DWORD src1_sel:BYTE_0
	v_add3_u32 v44, 0, v23, v44
	v_lshlrev_b32_sdwa v23, v94, v91 dst_sel:DWORD dst_unused:UNUSED_PAD src0_sel:DWORD src1_sel:BYTE_0
	v_mul_f32_e32 v21, v20, v31
	v_mul_lo_u16 v48, v76, 34
	v_add3_u32 v29, 0, v29, v26
	s_waitcnt vmcnt(3) lgkmcnt(5)
	v_mul_f32_e32 v26, v50, v33
	v_mul_f32_e32 v33, v12, v33
	v_add3_u32 v46, 0, v46, v23
	s_waitcnt vmcnt(2)
	v_mul_f32_e32 v23, v51, v35
	v_mul_lo_u16 v47, v83, 34
	v_fma_f32 v12, v12, v32, -v26
	s_waitcnt vmcnt(1) lgkmcnt(3)
	v_mul_f32_e32 v26, v54, v37
	v_fmac_f32_e32 v33, v50, v32
	v_mul_f32_e32 v32, v10, v37
	v_fma_f32 v23, v13, v34, -v23
	v_mul_f32_e32 v13, v13, v35
	v_fma_f32 v10, v10, v36, -v26
	s_waitcnt vmcnt(0)
	v_mul_f32_e32 v26, v55, v39
	v_mul_f32_e32 v35, v11, v39
	v_fmac_f32_e32 v32, v54, v36
	v_fma_f32 v20, v20, v30, -v86
	v_mul_lo_u16 v31, v14, 34
	v_fmac_f32_e32 v21, v49, v30
	v_mul_lo_u16 v30, v16, 34
	v_mul_lo_u16 v49, v18, 34
	;; [unrolled: 1-line block ×3, first 2 shown]
	v_sub_nc_u16 v48, v74, v48
	v_mul_lo_u16 v74, v85, 34
	v_fma_f32 v11, v11, v38, -v26
	v_fmac_f32_e32 v35, v55, v38
	v_fmac_f32_e32 v13, v51, v34
	v_sub_nc_u16 v47, v56, v47
	v_sub_f32_e32 v10, v2, v10
	v_sub_f32_e32 v32, v52, v32
	v_sub_nc_u16 v95, v67, v31
	v_sub_nc_u16 v96, v59, v30
	;; [unrolled: 1-line block ×4, first 2 shown]
	v_lshlrev_b32_sdwa v30, v94, v87 dst_sel:DWORD dst_unused:UNUSED_PAD src0_sel:DWORD src1_sel:WORD_0
	v_lshlrev_b32_sdwa v31, v94, v89 dst_sel:DWORD dst_unused:UNUSED_PAD src0_sel:DWORD src1_sel:WORD_0
	v_lshlrev_b32_sdwa v73, v94, v73 dst_sel:DWORD dst_unused:UNUSED_PAD src0_sel:DWORD src1_sel:WORD_0
	v_sub_nc_u16 v74, v62, v74
	v_sub_f32_e32 v11, v3, v11
	v_sub_f32_e32 v35, v53, v35
	s_waitcnt lgkmcnt(0)
	v_sub_f32_e32 v21, v1, v21
	v_sub_f32_e32 v12, v4, v12
	;; [unrolled: 1-line block ×12, first 2 shown]
	v_lshlrev_b32_sdwa v79, v94, v79 dst_sel:DWORD dst_unused:UNUSED_PAD src0_sel:DWORD src1_sel:WORD_0
	v_lshlrev_b32_sdwa v80, v94, v80 dst_sel:DWORD dst_unused:UNUSED_PAD src0_sel:DWORD src1_sel:WORD_0
	v_lshlrev_b32_sdwa v87, v42, v47 dst_sel:DWORD dst_unused:UNUSED_PAD src0_sel:DWORD src1_sel:BYTE_0
	v_fma_f32 v2, v2, 2.0, -v10
	v_fma_f32 v39, v52, 2.0, -v32
	v_lshlrev_b32_sdwa v89, v42, v88 dst_sel:DWORD dst_unused:UNUSED_PAD src0_sel:DWORD src1_sel:WORD_0
	v_lshlrev_b32_sdwa v90, v42, v95 dst_sel:DWORD dst_unused:UNUSED_PAD src0_sel:DWORD src1_sel:WORD_0
	v_add3_u32 v30, 0, v82, v30
	v_lshlrev_b32_sdwa v82, v42, v96 dst_sel:DWORD dst_unused:UNUSED_PAD src0_sel:DWORD src1_sel:WORD_0
	v_add3_u32 v31, 0, v84, v31
	v_lshlrev_b32_sdwa v84, v42, v49 dst_sel:DWORD dst_unused:UNUSED_PAD src0_sel:DWORD src1_sel:WORD_0
	v_lshlrev_b32_sdwa v97, v42, v86 dst_sel:DWORD dst_unused:UNUSED_PAD src0_sel:DWORD src1_sel:WORD_0
	v_add3_u32 v40, 0, v40, v73
	v_lshlrev_b32_sdwa v73, v42, v48 dst_sel:DWORD dst_unused:UNUSED_PAD src0_sel:DWORD src1_sel:WORD_0
	v_lshlrev_b32_sdwa v42, v42, v74 dst_sel:DWORD dst_unused:UNUSED_PAD src0_sel:DWORD src1_sel:BYTE_0
	v_fma_f32 v3, v3, 2.0, -v11
	v_fma_f32 v53, v53, 2.0, -v35
	;; [unrolled: 1-line block ×13, first 2 shown]
	v_add3_u32 v77, 0, v77, v79
	v_add3_u32 v78, 0, v78, v80
	s_barrier
	buffer_gl0_inv
	v_fma_f32 v51, v72, 2.0, -v36
	ds_write2_b32 v29, v2, v10 offset1:17
	ds_write2_b32 v46, v3, v11 offset1:17
	;; [unrolled: 1-line block ×8, first 2 shown]
	s_waitcnt lgkmcnt(0)
	s_barrier
	buffer_gl0_inv
	ds_read2_b32 v[6:7], v57 offset1:102
	ds_read2_b32 v[26:27], v64 offset0:48 offset1:150
	ds_read2_b32 v[8:9], v15 offset0:76 offset1:178
	;; [unrolled: 1-line block ×7, first 2 shown]
	s_waitcnt lgkmcnt(0)
	s_barrier
	buffer_gl0_inv
	ds_write2_b32 v29, v39, v32 offset1:17
	ds_write2_b32 v46, v53, v35 offset1:17
	;; [unrolled: 1-line block ×8, first 2 shown]
	s_waitcnt lgkmcnt(0)
	s_barrier
	buffer_gl0_inv
	s_clause 0x7
	global_load_dwordx2 v[38:39], v87, s[8:9] offset:136
	global_load_dwordx2 v[30:31], v42, s[8:9] offset:136
	;; [unrolled: 1-line block ×8, first 2 shown]
	v_mov_b32_e32 v19, 0x110
	v_mul_u32_u24_e32 v42, 0x110, v81
	v_lshlrev_b32_sdwa v46, v94, v47 dst_sel:DWORD dst_unused:UNUSED_PAD src0_sel:DWORD src1_sel:BYTE_0
	v_lshlrev_b32_sdwa v47, v94, v88 dst_sel:DWORD dst_unused:UNUSED_PAD src0_sel:DWORD src1_sel:WORD_0
	ds_read2_b32 v[52:53], v64 offset0:48 offset1:150
	v_mul_u32_u24_sdwa v40, v83, v19 dst_sel:DWORD dst_unused:UNUSED_PAD src0_sel:WORD_0 src1_sel:DWORD
	ds_read2_b32 v[54:55], v43 offset0:124 offset1:226
	ds_read2_b32 v[50:51], v45 offset0:72 offset1:174
	v_add3_u32 v73, 0, v42, v47
	v_mul_u32_u24_e32 v14, 0x110, v14
	v_add3_u32 v72, 0, v40, v46
	ds_read2_b32 v[46:47], v65 offset0:148 offset1:250
	v_mul_u32_u24_e32 v44, 0x110, v75
	v_lshlrev_b32_sdwa v75, v94, v95 dst_sel:DWORD dst_unused:UNUSED_PAD src0_sel:DWORD src1_sel:WORD_0
	v_mul_u32_u24_e32 v16, 0x110, v16
	v_mul_u32_u24_e32 v69, 0x110, v76
	v_lshlrev_b32_sdwa v76, v94, v96 dst_sel:DWORD dst_unused:UNUSED_PAD src0_sel:DWORD src1_sel:WORD_0
	v_mul_u32_u24_e32 v18, 0x110, v18
	v_lshlrev_b32_sdwa v49, v94, v49 dst_sel:DWORD dst_unused:UNUSED_PAD src0_sel:DWORD src1_sel:WORD_0
	v_mul_u32_u24_sdwa v19, v85, v19 dst_sel:DWORD dst_unused:UNUSED_PAD src0_sel:WORD_0 src1_sel:DWORD
	v_lshlrev_b32_sdwa v40, v94, v74 dst_sel:DWORD dst_unused:UNUSED_PAD src0_sel:DWORD src1_sel:BYTE_0
	v_lshlrev_b32_sdwa v48, v94, v48 dst_sel:DWORD dst_unused:UNUSED_PAD src0_sel:DWORD src1_sel:WORD_0
	v_add3_u32 v74, 0, v14, v75
	v_add3_u32 v75, 0, v16, v76
	;; [unrolled: 1-line block ×5, first 2 shown]
	v_lshlrev_b32_sdwa v77, v94, v86 dst_sel:DWORD dst_unused:UNUSED_PAD src0_sel:DWORD src1_sel:WORD_0
	v_add_nc_u32_e32 v71, 0x600, v57
	v_add_nc_u32_e32 v70, 0x1000, v57
	v_add3_u32 v77, 0, v44, v77
	ds_read2_b32 v[48:49], v57 offset1:102
	ds_read2_b32 v[44:45], v15 offset0:76 offset1:178
	ds_read2_b32 v[42:43], v41 offset0:152 offset1:254
	;; [unrolled: 1-line block ×3, first 2 shown]
	s_waitcnt vmcnt(0) lgkmcnt(0)
	s_barrier
	buffer_gl0_inv
	v_mul_f32_e32 v14, v52, v39
	v_mul_f32_e32 v16, v53, v31
	;; [unrolled: 1-line block ×8, first 2 shown]
	v_fma_f32 v14, v26, v38, -v14
	v_fma_f32 v16, v27, v30, -v16
	;; [unrolled: 1-line block ×8, first 2 shown]
	v_sub_f32_e32 v14, v6, v14
	v_sub_f32_e32 v16, v7, v16
	;; [unrolled: 1-line block ×8, first 2 shown]
	v_fma_f32 v6, v6, 2.0, -v14
	v_fma_f32 v7, v7, 2.0, -v16
	;; [unrolled: 1-line block ×8, first 2 shown]
	ds_write2_b32 v72, v6, v14 offset1:34
	ds_write2_b32 v79, v7, v16 offset1:34
	;; [unrolled: 1-line block ×8, first 2 shown]
	s_waitcnt lgkmcnt(0)
	s_barrier
	buffer_gl0_inv
	ds_read2_b32 v[8:9], v57 offset1:102
	ds_read2_b32 v[6:7], v71 offset0:24 offset1:160
	ds_read2_b32 v[18:19], v70 offset0:64 offset1:166
	;; [unrolled: 1-line block ×6, first 2 shown]
	ds_read_b32 v65, v57 offset:5984
                                        ; implicit-def: $vgpr64
	s_and_saveexec_b32 s1, s0
	s_cbranch_execz .LBB0_17
; %bb.16:
	ds_read_b32 v69, v57 offset:2040
	ds_read_b32 v58, v57 offset:4216
	;; [unrolled: 1-line block ×3, first 2 shown]
.LBB0_17:
	s_or_b32 exec_lo, exec_lo, s1
	v_mul_f32_e32 v26, v26, v39
	v_mul_f32_e32 v22, v22, v33
	;; [unrolled: 1-line block ×5, first 2 shown]
	v_fmac_f32_e32 v26, v52, v38
	v_mul_f32_e32 v3, v3, v29
	v_fmac_f32_e32 v22, v54, v32
	v_mul_f32_e32 v0, v0, v5
	v_mul_f32_e32 v1, v1, v21
	v_fmac_f32_e32 v27, v53, v30
	v_fmac_f32_e32 v23, v55, v34
	;; [unrolled: 1-line block ×4, first 2 shown]
	v_sub_f32_e32 v5, v48, v26
	v_sub_f32_e32 v22, v44, v22
	v_fmac_f32_e32 v0, v46, v4
	v_fmac_f32_e32 v1, v47, v20
	v_sub_f32_e32 v21, v49, v27
	v_sub_f32_e32 v23, v45, v23
	;; [unrolled: 1-line block ×3, first 2 shown]
	v_fma_f32 v4, v48, 2.0, -v5
	v_fma_f32 v26, v44, 2.0, -v22
	v_sub_f32_e32 v3, v43, v3
	v_sub_f32_e32 v0, v40, v0
	;; [unrolled: 1-line block ×3, first 2 shown]
	v_fma_f32 v20, v49, 2.0, -v21
	v_fma_f32 v1, v45, 2.0, -v23
	;; [unrolled: 1-line block ×6, first 2 shown]
	s_waitcnt lgkmcnt(0)
	s_barrier
	buffer_gl0_inv
	ds_write2_b32 v72, v4, v5 offset1:34
	ds_write2_b32 v79, v20, v21 offset1:34
	;; [unrolled: 1-line block ×8, first 2 shown]
	v_add_nc_u32_e32 v4, 0x800, v57
	v_add_nc_u32_e32 v5, 0x200, v57
	;; [unrolled: 1-line block ×4, first 2 shown]
	s_waitcnt lgkmcnt(0)
	s_barrier
	buffer_gl0_inv
	ds_read2_b32 v[2:3], v57 offset1:102
	ds_read2_b32 v[0:1], v71 offset0:24 offset1:160
	ds_read2_b32 v[28:29], v70 offset0:64 offset1:166
	;; [unrolled: 1-line block ×6, first 2 shown]
	ds_read_b32 v31, v57 offset:5984
                                        ; implicit-def: $vgpr30
	s_and_saveexec_b32 s1, s0
	s_cbranch_execz .LBB0_19
; %bb.18:
	ds_read_b32 v44, v57 offset:2040
	ds_read_b32 v63, v57 offset:4216
	;; [unrolled: 1-line block ×3, first 2 shown]
.LBB0_19:
	s_or_b32 exec_lo, exec_lo, s1
	v_add_nc_u32_e32 v32, 0xffffffbc, v56
	v_cmp_gt_u32_e64 s1, 0x44, v56
	v_mul_lo_u16 v34, 0x79, v68
	v_mov_b32_e32 v33, 0
	v_mov_b32_e32 v35, 0xf0f1
	;; [unrolled: 1-line block ×3, first 2 shown]
	v_cndmask_b32_e64 v36, v32, v56, s1
	v_lshrrev_b16 v34, 13, v34
	v_mul_u32_u24_sdwa v37, v61, v35 dst_sel:DWORD dst_unused:UNUSED_PAD src0_sel:WORD_0 src1_sel:DWORD
	v_mul_u32_u24_sdwa v39, v67, v35 dst_sel:DWORD dst_unused:UNUSED_PAD src0_sel:WORD_0 src1_sel:DWORD
	v_lshlrev_b32_e32 v32, 1, v36
	v_mul_lo_u16 v40, 0x44, v34
	v_mul_u32_u24_sdwa v41, v59, v35 dst_sel:DWORD dst_unused:UNUSED_PAD src0_sel:WORD_0 src1_sel:DWORD
	v_mul_u32_u24_sdwa v35, v66, v35 dst_sel:DWORD dst_unused:UNUSED_PAD src0_sel:WORD_0 src1_sel:DWORD
	v_lshrrev_b32_e32 v37, 22, v37
	v_lshlrev_b64 v[32:33], 3, v[32:33]
	v_sub_nc_u16 v40, v62, v40
	v_lshrrev_b32_e32 v39, 22, v39
	v_lshrrev_b32_e32 v41, 22, v41
	;; [unrolled: 1-line block ×3, first 2 shown]
	v_mul_lo_u16 v42, 0x44, v37
	v_add_co_u32 v32, s1, s8, v32
	v_add_co_ci_u32_e64 v33, s1, s9, v33, s1
	v_lshlrev_b32_sdwa v45, v38, v40 dst_sel:DWORD dst_unused:UNUSED_PAD src0_sel:DWORD src1_sel:BYTE_0
	v_mul_lo_u16 v43, 0x44, v39
	v_mul_lo_u16 v35, 0x44, v35
	global_load_dwordx4 v[51:54], v[32:33], off offset:408
	v_sub_nc_u16 v42, v61, v42
	global_load_dwordx4 v[70:73], v45, s[8:9] offset:408
	v_mul_lo_u16 v32, 0x44, v41
	v_sub_nc_u16 v33, v67, v43
	v_sub_nc_u16 v35, v66, v35
	v_lshlrev_b32_sdwa v43, v38, v42 dst_sel:DWORD dst_unused:UNUSED_PAD src0_sel:DWORD src1_sel:WORD_0
	v_cmp_lt_u32_e64 s1, 0x43, v56
	v_sub_nc_u16 v32, v59, v32
	v_lshlrev_b32_sdwa v45, v38, v33 dst_sel:DWORD dst_unused:UNUSED_PAD src0_sel:DWORD src1_sel:WORD_0
	v_and_b32_e32 v35, 0xffff, v35
	global_load_dwordx4 v[74:77], v43, s[8:9] offset:408
	v_mul_u32_u24_e32 v37, 0x330, v37
	v_lshlrev_b32_sdwa v38, v38, v32 dst_sel:DWORD dst_unused:UNUSED_PAD src0_sel:DWORD src1_sel:WORD_0
	global_load_dwordx4 v[78:81], v45, s[8:9] offset:408
	v_lshlrev_b32_e32 v36, 2, v36
	global_load_dwordx4 v[82:85], v38, s[8:9] offset:408
	v_lshlrev_b32_e32 v38, 4, v35
	v_cndmask_b32_e64 v43, 0, 0x330, s1
	global_load_dwordx4 v[86:89], v38, s[8:9] offset:408
	v_mov_b32_e32 v38, 0x330
	v_mov_b32_e32 v45, 2
	v_add3_u32 v48, 0, v43, v36
	s_waitcnt vmcnt(0) lgkmcnt(0)
	s_barrier
	v_mul_u32_u24_sdwa v34, v34, v38 dst_sel:DWORD dst_unused:UNUSED_PAD src0_sel:WORD_0 src1_sel:DWORD
	v_mul_u32_u24_e32 v38, 0x330, v39
	v_mul_u32_u24_e32 v39, 0x330, v41
	v_lshlrev_b32_sdwa v40, v45, v40 dst_sel:DWORD dst_unused:UNUSED_PAD src0_sel:DWORD src1_sel:BYTE_0
	v_lshlrev_b32_sdwa v41, v45, v42 dst_sel:DWORD dst_unused:UNUSED_PAD src0_sel:DWORD src1_sel:WORD_0
	v_lshlrev_b32_sdwa v33, v45, v33 dst_sel:DWORD dst_unused:UNUSED_PAD src0_sel:DWORD src1_sel:WORD_0
	;; [unrolled: 1-line block ×3, first 2 shown]
	v_lshl_add_u32 v42, v35, 2, 0
	v_add3_u32 v47, 0, v34, v40
	v_add3_u32 v46, 0, v37, v41
	;; [unrolled: 1-line block ×4, first 2 shown]
	buffer_gl0_inv
	v_mul_f32_e32 v40, v1, v52
	v_mul_f32_e32 v41, v28, v54
	;; [unrolled: 1-line block ×8, first 2 shown]
	v_fma_f32 v40, v7, v51, -v40
	v_fma_f32 v41, v18, v53, -v41
	;; [unrolled: 1-line block ×3, first 2 shown]
	v_mul_f32_e32 v55, v27, v75
	v_mul_f32_e32 v37, v17, v75
	;; [unrolled: 1-line block ×5, first 2 shown]
	v_fmac_f32_e32 v38, v26, v70
	v_fma_f32 v26, v19, v72, -v54
	v_mul_f32_e32 v71, v21, v83
	v_mul_f32_e32 v33, v13, v83
	;; [unrolled: 1-line block ×5, first 2 shown]
	v_fma_f32 v19, v17, v74, -v55
	v_fmac_f32_e32 v37, v27, v74
	v_fma_f32 v27, v14, v76, -v66
	v_mul_f32_e32 v32, v12, v79
	v_mul_f32_e32 v49, v15, v81
	v_fmac_f32_e32 v39, v1, v51
	v_fmac_f32_e32 v36, v28, v53
	v_fma_f32 v14, v12, v78, -v67
	v_fma_f32 v16, v15, v80, -v68
	;; [unrolled: 1-line block ×3, first 2 shown]
	v_fmac_f32_e32 v33, v21, v82
	v_fma_f32 v17, v65, v84, -v73
	v_mul_f32_e32 v12, v63, v87
	v_add_f32_e32 v21, v40, v41
	v_fmac_f32_e32 v35, v29, v72
	v_add_f32_e32 v28, v18, v26
	v_fmac_f32_e32 v34, v22, v76
	v_fmac_f32_e32 v50, v31, v84
	v_mul_f32_e32 v1, v64, v89
	v_add_f32_e32 v31, v19, v27
	v_fmac_f32_e32 v32, v20, v78
	v_fmac_f32_e32 v49, v23, v80
	v_mul_f32_e32 v7, v58, v87
	v_mul_f32_e32 v13, v30, v89
	v_add_f32_e32 v20, v8, v40
	v_sub_f32_e32 v22, v39, v36
	v_fma_f32 v12, v58, v86, -v12
	v_add_f32_e32 v53, v14, v16
	v_add_f32_e32 v58, v15, v17
	v_fma_f32 v8, -0.5, v21, v8
	v_add_f32_e32 v23, v9, v18
	v_sub_f32_e32 v29, v38, v35
	v_fmac_f32_e32 v9, -0.5, v28
	v_fmac_f32_e32 v1, v30, v88
	v_add_f32_e32 v30, v10, v19
	v_sub_f32_e32 v51, v37, v34
	v_fma_f32 v10, -0.5, v31, v10
	v_fmac_f32_e32 v7, v63, v86
	v_fma_f32 v13, v64, v88, -v13
	v_add_f32_e32 v52, v11, v14
	v_sub_f32_e32 v54, v32, v49
	v_add_f32_e32 v55, v6, v15
	v_sub_f32_e32 v63, v33, v50
	v_add_f32_e32 v20, v20, v41
	v_fmac_f32_e32 v11, -0.5, v53
	v_fmac_f32_e32 v6, -0.5, v58
	v_fmamk_f32 v31, v22, 0x3f5db3d7, v8
	v_fmac_f32_e32 v8, 0xbf5db3d7, v22
	v_add_f32_e32 v21, v23, v26
	v_fmamk_f32 v22, v29, 0x3f5db3d7, v9
	v_fmac_f32_e32 v9, 0xbf5db3d7, v29
	v_add_f32_e32 v23, v30, v27
	v_fmamk_f32 v29, v51, 0x3f5db3d7, v10
	v_add_f32_e32 v28, v52, v16
	v_add_f32_e32 v30, v55, v17
	v_fmac_f32_e32 v10, 0xbf5db3d7, v51
	v_fmamk_f32 v51, v54, 0x3f5db3d7, v11
	v_fmac_f32_e32 v11, 0xbf5db3d7, v54
	v_fmamk_f32 v52, v63, 0x3f5db3d7, v6
	v_fmac_f32_e32 v6, 0xbf5db3d7, v63
	ds_write2_b32 v48, v20, v31 offset1:68
	ds_write_b32 v48, v8 offset:544
	ds_write2_b32 v47, v21, v22 offset1:68
	ds_write_b32 v47, v9 offset:544
	;; [unrolled: 2-line block ×5, first 2 shown]
	s_and_saveexec_b32 s1, s0
	s_cbranch_execz .LBB0_21
; %bb.20:
	v_add_f32_e32 v6, v12, v13
	v_sub_f32_e32 v8, v7, v1
	v_add_f32_e32 v9, v69, v12
	v_add_nc_u32_e32 v10, 0x1400, v42
	v_fma_f32 v6, -0.5, v6, v69
	v_add_f32_e32 v9, v9, v13
	v_fmamk_f32 v11, v8, 0xbf5db3d7, v6
	v_fmac_f32_e32 v6, 0x3f5db3d7, v8
	ds_write2_b32 v10, v9, v6 offset0:148 offset1:216
	ds_write_b32 v42, v11 offset:6256
.LBB0_21:
	s_or_b32 exec_lo, exec_lo, s1
	v_add_f32_e32 v6, v39, v36
	v_add_f32_e32 v8, v2, v39
	v_sub_f32_e32 v9, v40, v41
	v_add_f32_e32 v10, v38, v35
	v_add_f32_e32 v11, v37, v34
	v_fma_f32 v2, -0.5, v6, v2
	v_add_f32_e32 v6, v3, v38
	v_sub_f32_e32 v14, v14, v16
	v_fmac_f32_e32 v3, -0.5, v10
	v_add_f32_e32 v16, v0, v33
	v_fmamk_f32 v10, v9, 0xbf5db3d7, v2
	v_fmac_f32_e32 v2, 0x3f5db3d7, v9
	v_sub_f32_e32 v9, v18, v26
	v_add_f32_e32 v18, v4, v37
	v_fma_f32 v4, -0.5, v11, v4
	v_sub_f32_e32 v11, v19, v27
	s_waitcnt lgkmcnt(0)
	v_fmamk_f32 v19, v9, 0xbf5db3d7, v3
	v_fmac_f32_e32 v3, 0x3f5db3d7, v9
	v_add_f32_e32 v9, v18, v34
	v_fmamk_f32 v20, v11, 0xbf5db3d7, v4
	v_fmac_f32_e32 v4, 0x3f5db3d7, v11
	v_add_f32_e32 v11, v33, v50
	v_add_f32_e32 v18, v32, v49
	s_barrier
	buffer_gl0_inv
	v_add_f32_e32 v21, v5, v32
	v_fmac_f32_e32 v0, -0.5, v11
	v_sub_f32_e32 v11, v15, v17
	v_add_nc_u32_e32 v15, 0x200, v57
	v_add_nc_u32_e32 v17, 0x400, v57
	ds_read2_b32 v[26:27], v57 offset1:102
	ds_read2_b32 v[28:29], v15 offset0:76 offset1:178
	ds_read2_b32 v[30:31], v17 offset0:152 offset1:254
	v_add_nc_u32_e32 v15, 0x800, v57
	v_add_nc_u32_e32 v17, 0xc00, v57
	v_fmac_f32_e32 v5, -0.5, v18
	v_add_nc_u32_e32 v18, 0xe00, v57
	v_add_nc_u32_e32 v22, 0x1200, v57
	v_add_nc_u32_e32 v23, 0x1400, v57
	v_add_f32_e32 v8, v8, v36
	v_add_f32_e32 v6, v6, v35
	ds_read2_b32 v[40:41], v15 offset0:100 offset1:202
	ds_read2_b32 v[38:39], v17 offset0:48 offset1:150
	;; [unrolled: 1-line block ×5, first 2 shown]
	v_add_f32_e32 v15, v21, v49
	v_fmamk_f32 v17, v14, 0xbf5db3d7, v5
	v_fmac_f32_e32 v5, 0x3f5db3d7, v14
	v_add_f32_e32 v14, v16, v50
	v_fmamk_f32 v16, v11, 0xbf5db3d7, v0
	v_fmac_f32_e32 v0, 0x3f5db3d7, v11
	s_waitcnt lgkmcnt(0)
	s_barrier
	buffer_gl0_inv
	ds_write2_b32 v48, v8, v10 offset1:68
	ds_write_b32 v48, v2 offset:544
	ds_write2_b32 v47, v6, v19 offset1:68
	ds_write_b32 v47, v3 offset:544
	;; [unrolled: 2-line block ×5, first 2 shown]
	s_and_saveexec_b32 s1, s0
	s_cbranch_execz .LBB0_23
; %bb.22:
	v_add_f32_e32 v0, v7, v1
	v_add_f32_e32 v2, v44, v7
	v_sub_f32_e32 v3, v12, v13
	v_fmac_f32_e32 v44, -0.5, v0
	v_add_nc_u32_e32 v0, 0x1400, v42
	v_add_f32_e32 v1, v2, v1
	v_fmamk_f32 v2, v3, 0xbf5db3d7, v44
	v_fmamk_f32 v3, v3, 0x3f5db3d7, v44
	ds_write2_b32 v0, v1, v2 offset0:148 offset1:216
	ds_write_b32 v42, v3 offset:6256
.LBB0_23:
	s_or_b32 exec_lo, exec_lo, s1
	s_waitcnt lgkmcnt(0)
	s_barrier
	buffer_gl0_inv
	s_and_saveexec_b32 s0, vcc_lo
	s_cbranch_execz .LBB0_25
; %bb.24:
	v_mul_u32_u24_e32 v0, 7, v62
	v_mul_u32_u24_e32 v1, 7, v56
	v_add_nc_u32_e32 v54, 0xc00, v57
	v_add_nc_u32_e32 v55, 0x800, v57
	;; [unrolled: 1-line block ×3, first 2 shown]
	v_lshlrev_b32_e32 v0, 3, v0
	v_lshlrev_b32_e32 v1, 3, v1
	v_add_nc_u32_e32 v52, 0x400, v57
	v_add_nc_u32_e32 v53, 0x1200, v57
	;; [unrolled: 1-line block ×3, first 2 shown]
	s_clause 0x7
	global_load_dwordx4 v[20:23], v0, s[8:9] offset:1512
	global_load_dwordx4 v[16:19], v1, s[8:9] offset:1512
	;; [unrolled: 1-line block ×4, first 2 shown]
	global_load_dwordx2 v[44:45], v0, s[8:9] offset:1544
	global_load_dwordx2 v[42:43], v1, s[8:9] offset:1544
	global_load_dwordx4 v[4:7], v1, s[8:9] offset:1496
	global_load_dwordx4 v[0:3], v1, s[8:9] offset:1528
	v_add_nc_u32_e32 v50, 0xe00, v57
	v_add_nc_u32_e32 v103, 0x1400, v57
	ds_read2_b32 v[57:58], v57 offset1:102
	ds_read2_b32 v[67:68], v54 offset0:48 offset1:150
	ds_read2_b32 v[54:55], v55 offset0:100 offset1:202
	;; [unrolled: 1-line block ×4, first 2 shown]
	v_mad_u64_u32 v[46:47], null, s2, v56, 0
	v_mad_u64_u32 v[48:49], null, s2, v61, 0
	v_mul_hi_u32 v79, 0xa0a0a0a1, v62
	v_mad_u64_u32 v[71:72], null, s2, v83, 0
	v_add_nc_u32_e32 v84, 0x3fc, v56
	v_add_nc_u32_e32 v85, 0x4c8, v56
	;; [unrolled: 1-line block ×3, first 2 shown]
	v_mad_u64_u32 v[63:64], null, s2, v59, 0
	v_mad_u64_u32 v[65:66], null, s2, v60, 0
	;; [unrolled: 1-line block ×5, first 2 shown]
	v_lshrrev_b32_e32 v87, 7, v79
	v_mad_u64_u32 v[79:80], null, s3, v56, v[47:48]
	v_mov_b32_e32 v47, v72
	v_mad_u64_u32 v[80:81], null, s3, v61, v[49:50]
	v_mad_u32_u24 v97, 0x594, v87, v62
	v_mad_u64_u32 v[81:82], null, s3, v59, v[64:65]
	v_mad_u64_u32 v[61:62], null, s3, v83, v[47:48]
	v_mov_b32_e32 v49, v74
	s_waitcnt lgkmcnt(3)
	v_mad_u64_u32 v[59:60], null, s3, v60, v[66:67]
	v_mov_b32_e32 v56, v76
	v_mov_b32_e32 v60, v78
	;; [unrolled: 1-line block ×3, first 2 shown]
	v_mad_u64_u32 v[82:83], null, s3, v84, v[49:50]
	v_mov_b32_e32 v49, v80
	v_mad_u64_u32 v[83:84], null, s3, v85, v[56:57]
	v_mad_u64_u32 v[84:85], null, s3, v86, v[60:61]
	v_add_nc_u32_e32 v99, 0x198, v97
	v_add_nc_u32_e32 v100, 0x264, v97
	v_lshlrev_b64 v[46:47], 3, v[46:47]
	v_add_co_u32 v24, vcc_lo, s12, v24
	v_mad_u64_u32 v[85:86], null, s2, v97, 0
	v_add_nc_u32_e32 v101, 0x330, v97
	v_mov_b32_e32 v64, v81
	v_add_co_ci_u32_e32 v25, vcc_lo, s13, v25, vcc_lo
	v_lshlrev_b64 v[48:49], 3, v[48:49]
	v_add_nc_u32_e32 v98, 0xcc, v97
	v_mad_u64_u32 v[79:80], null, s2, v99, 0
	v_mad_u64_u32 v[87:88], null, s2, v100, 0
	v_add_nc_u32_e32 v102, 0x3fc, v97
	v_add_nc_u32_e32 v104, 0x4c8, v97
	v_mad_u64_u32 v[89:90], null, s2, v101, 0
	v_mov_b32_e32 v72, v61
	v_lshlrev_b64 v[61:62], 3, v[63:64]
	v_add_co_u32 v46, vcc_lo, v24, v46
	v_mov_b32_e32 v66, v59
	v_mov_b32_e32 v74, v82
	;; [unrolled: 1-line block ×4, first 2 shown]
	v_add_co_ci_u32_e32 v47, vcc_lo, v25, v47, vcc_lo
	v_mad_u64_u32 v[59:60], null, s2, v98, 0
	v_mov_b32_e32 v56, v86
	v_add_co_u32 v48, vcc_lo, v24, v48
	v_mad_u64_u32 v[91:92], null, s2, v102, 0
	v_mad_u64_u32 v[93:94], null, s2, v104, 0
	v_add_co_ci_u32_e32 v49, vcc_lo, v25, v49, vcc_lo
	v_add_co_u32 v61, vcc_lo, v24, v61
	v_lshlrev_b64 v[63:64], 3, v[65:66]
	v_lshlrev_b64 v[65:66], 3, v[71:72]
	;; [unrolled: 1-line block ×5, first 2 shown]
	v_mov_b32_e32 v77, v80
	v_mov_b32_e32 v78, v88
	v_mad_u64_u32 v[80:81], null, s3, v97, v[56:57]
	v_mov_b32_e32 v56, v90
	v_mad_u64_u32 v[81:82], null, s3, v98, v[60:61]
	v_mad_u64_u32 v[82:83], null, s3, v99, v[77:78]
	v_mov_b32_e32 v60, v92
	v_mad_u64_u32 v[83:84], null, s3, v101, v[56:57]
	v_mov_b32_e32 v56, v94
	v_add_nc_u32_e32 v105, 0x594, v97
	v_mad_u64_u32 v[77:78], null, s3, v100, v[78:79]
	v_mad_u64_u32 v[97:98], null, s3, v102, v[60:61]
	v_mad_u64_u32 v[100:101], null, s3, v104, v[56:57]
	ds_read2_b32 v[98:99], v51 offset0:76 offset1:178
	ds_read2_b32 v[101:102], v50 offset0:124 offset1:226
	;; [unrolled: 1-line block ×3, first 2 shown]
	v_mad_u64_u32 v[95:96], null, s2, v105, 0
	v_mov_b32_e32 v86, v80
	v_mov_b32_e32 v88, v77
	;; [unrolled: 1-line block ×4, first 2 shown]
	v_add_co_ci_u32_e32 v62, vcc_lo, v25, v62, vcc_lo
	v_mov_b32_e32 v51, v96
	v_lshlrev_b64 v[77:78], 3, v[85:86]
	v_lshlrev_b64 v[81:82], 3, v[87:88]
	v_add_co_u32 v63, vcc_lo, v24, v63
	s_waitcnt lgkmcnt(3)
	v_mad_u64_u32 v[50:51], null, s3, v105, v[51:52]
	v_add_co_ci_u32_e32 v64, vcc_lo, v25, v64, vcc_lo
	v_add_co_u32 v65, vcc_lo, v24, v65
	v_add_co_ci_u32_e32 v66, vcc_lo, v25, v66, vcc_lo
	v_add_co_u32 v71, vcc_lo, v24, v71
	;; [unrolled: 2-line block ×4, first 2 shown]
	v_lshlrev_b64 v[59:60], 3, v[59:60]
	v_add_co_ci_u32_e32 v76, vcc_lo, v25, v76, vcc_lo
	v_lshlrev_b64 v[79:80], 3, v[79:80]
	v_add_co_u32 v77, vcc_lo, v24, v77
	v_mov_b32_e32 v90, v83
	v_add_co_ci_u32_e32 v78, vcc_lo, v25, v78, vcc_lo
	v_add_co_u32 v59, vcc_lo, v24, v59
	v_mov_b32_e32 v92, v97
	v_add_co_ci_u32_e32 v60, vcc_lo, v25, v60, vcc_lo
	v_lshlrev_b64 v[83:84], 3, v[89:90]
	v_add_co_u32 v79, vcc_lo, v24, v79
	v_mov_b32_e32 v94, v100
	v_add_co_ci_u32_e32 v80, vcc_lo, v25, v80, vcc_lo
	v_add_co_u32 v81, vcc_lo, v24, v81
	v_mov_b32_e32 v96, v50
	v_add_co_ci_u32_e32 v82, vcc_lo, v25, v82, vcc_lo
	s_waitcnt vmcnt(7)
	v_mul_f32_e32 v51, v39, v23
	v_mul_f32_e32 v56, v41, v21
	;; [unrolled: 1-line block ×4, first 2 shown]
	s_waitcnt vmcnt(6)
	v_mul_f32_e32 v85, v38, v19
	v_mul_f32_e32 v86, v40, v17
	;; [unrolled: 1-line block ×4, first 2 shown]
	s_waitcnt vmcnt(5)
	v_mul_f32_e32 v87, v70, v15
	s_waitcnt vmcnt(4)
	v_mul_f32_e32 v88, v53, v11
	v_fmac_f32_e32 v51, v68, v22
	v_fmac_f32_e32 v56, v55, v20
	v_fma_f32 v20, v41, v20, -v21
	v_fma_f32 v21, v39, v22, -v23
	s_waitcnt lgkmcnt(2)
	v_mul_f32_e32 v22, v99, v13
	v_mul_f32_e32 v13, v29, v13
	;; [unrolled: 1-line block ×3, first 2 shown]
	s_waitcnt lgkmcnt(1)
	v_mul_f32_e32 v23, v102, v9
	v_fmac_f32_e32 v85, v67, v18
	v_mul_f32_e32 v9, v33, v9
	v_mul_f32_e32 v11, v35, v11
	v_fmac_f32_e32 v86, v54, v16
	s_waitcnt vmcnt(3)
	v_mul_f32_e32 v39, v37, v45
	s_waitcnt lgkmcnt(0)
	v_mul_f32_e32 v41, v104, v45
	v_fma_f32 v16, v40, v16, -v17
	s_waitcnt vmcnt(2)
	v_mul_f32_e32 v17, v36, v43
	v_mul_f32_e32 v40, v103, v43
	v_fma_f32 v18, v38, v18, -v19
	s_waitcnt vmcnt(1)
	v_mul_f32_e32 v19, v98, v5
	v_mul_f32_e32 v38, v69, v7
	;; [unrolled: 1-line block ×3, first 2 shown]
	s_waitcnt vmcnt(0)
	v_mul_f32_e32 v43, v52, v3
	v_mul_f32_e32 v7, v30, v7
	;; [unrolled: 1-line block ×5, first 2 shown]
	v_fma_f32 v31, v31, v14, -v87
	v_fma_f32 v22, v29, v12, -v22
	v_fmac_f32_e32 v13, v12, v99
	v_fmac_f32_e32 v15, v14, v70
	v_fma_f32 v12, v35, v10, -v88
	v_fma_f32 v14, v33, v8, -v23
	v_fmac_f32_e32 v9, v8, v102
	v_fmac_f32_e32 v11, v10, v53
	;; [unrolled: 1-line block ×3, first 2 shown]
	v_fma_f32 v8, v37, v44, -v41
	v_fmac_f32_e32 v17, v103, v42
	v_fma_f32 v10, v36, v42, -v40
	v_fma_f32 v19, v28, v4, -v19
	v_fma_f32 v23, v30, v6, -v38
	v_fma_f32 v28, v34, v2, -v43
	v_fma_f32 v29, v32, v0, -v45
	v_fmac_f32_e32 v5, v4, v98
	v_fmac_f32_e32 v1, v0, v101
	;; [unrolled: 1-line block ×4, first 2 shown]
	v_sub_f32_e32 v0, v31, v12
	v_sub_f32_e32 v2, v58, v51
	;; [unrolled: 1-line block ×17, first 2 shown]
	v_add_f32_e32 v33, v9, v8
	v_sub_f32_e32 v34, v12, v11
	v_fma_f32 v35, v58, 2.0, -v2
	v_fma_f32 v3, v15, 2.0, -v11
	;; [unrolled: 1-line block ×8, first 2 shown]
	v_add_f32_e32 v22, v14, v21
	v_add_f32_e32 v31, v29, v10
	v_fma_f32 v37, v57, 2.0, -v21
	v_fma_f32 v7, v7, 2.0, -v1
	;; [unrolled: 1-line block ×8, first 2 shown]
	v_sub_f32_e32 v27, v28, v17
	v_sub_f32_e32 v36, v18, v1
	v_add_f32_e32 v30, v0, v2
	v_fmamk_f32 v0, v32, 0x3f3504f3, v34
	v_sub_f32_e32 v17, v35, v3
	v_sub_f32_e32 v20, v15, v20
	;; [unrolled: 1-line block ×3, first 2 shown]
	v_fma_f32 v41, v12, 2.0, -v34
	v_fmamk_f32 v3, v31, 0x3f3504f3, v22
	v_sub_f32_e32 v42, v37, v7
	v_sub_f32_e32 v12, v19, v10
	;; [unrolled: 1-line block ×5, first 2 shown]
	v_fma_f32 v44, v21, 2.0, -v22
	v_fma_f32 v28, v28, 2.0, -v27
	;; [unrolled: 1-line block ×4, first 2 shown]
	v_fmamk_f32 v1, v33, 0x3f3504f3, v30
	v_fma_f32 v38, v2, 2.0, -v30
	v_fma_f32 v39, v4, 2.0, -v32
	;; [unrolled: 1-line block ×3, first 2 shown]
	v_fmamk_f32 v2, v27, 0x3f3504f3, v36
	v_fmac_f32_e32 v0, 0xbf3504f3, v33
	v_sub_f32_e32 v4, v20, v26
	v_fma_f32 v18, v13, 2.0, -v26
	v_fmac_f32_e32 v3, 0x3f3504f3, v27
	v_fma_f32 v26, v37, 2.0, -v42
	v_fma_f32 v23, v23, 2.0, -v14
	;; [unrolled: 1-line block ×5, first 2 shown]
	v_fmamk_f32 v11, v29, 0xbf3504f3, v44
	v_fmamk_f32 v10, v28, 0xbf3504f3, v45
	v_fmac_f32_e32 v1, 0x3f3504f3, v32
	v_add_f32_e32 v5, v17, v8
	v_fmamk_f32 v7, v40, 0xbf3504f3, v38
	v_fmamk_f32 v6, v39, 0xbf3504f3, v41
	v_fma_f32 v32, v35, 2.0, -v17
	v_fma_f32 v35, v15, 2.0, -v20
	;; [unrolled: 1-line block ×3, first 2 shown]
	v_sub_f32_e32 v23, v26, v23
	v_sub_f32_e32 v22, v33, v27
	v_fmac_f32_e32 v11, 0x3f3504f3, v28
	v_fmac_f32_e32 v10, 0xbf3504f3, v29
	v_add_f32_e32 v9, v42, v12
	v_sub_f32_e32 v8, v43, v14
	v_fmac_f32_e32 v2, 0xbf3504f3, v31
	v_fma_f32 v13, v30, 2.0, -v1
	v_fma_f32 v15, v17, 2.0, -v5
	v_fmac_f32_e32 v7, 0x3f3504f3, v39
	v_fmac_f32_e32 v6, 0xbf3504f3, v40
	v_sub_f32_e32 v17, v32, v18
	v_sub_f32_e32 v16, v35, v21
	v_fma_f32 v31, v26, 2.0, -v23
	v_fma_f32 v30, v33, 2.0, -v22
	;; [unrolled: 1-line block ×12, first 2 shown]
	global_store_dwordx2 v[46:47], v[30:31], off
	global_store_dwordx2 v[48:49], v[28:29], off
	;; [unrolled: 1-line block ×11, first 2 shown]
	v_lshlrev_b64 v[2:3], 3, v[91:92]
	v_add_co_u32 v8, vcc_lo, v24, v83
	v_lshlrev_b64 v[10:11], 3, v[93:94]
	v_add_co_ci_u32_e32 v9, vcc_lo, v25, v84, vcc_lo
	v_add_co_u32 v2, vcc_lo, v24, v2
	v_lshlrev_b64 v[14:15], 3, v[95:96]
	v_add_co_ci_u32_e32 v3, vcc_lo, v25, v3, vcc_lo
	v_add_co_u32 v10, vcc_lo, v24, v10
	v_fma_f32 v12, v34, 2.0, -v0
	v_add_co_ci_u32_e32 v11, vcc_lo, v25, v11, vcc_lo
	v_add_co_u32 v14, vcc_lo, v24, v14
	v_add_co_ci_u32_e32 v15, vcc_lo, v25, v15, vcc_lo
	global_store_dwordx2 v[81:82], v[12:13], off
	global_store_dwordx2 v[8:9], v[16:17], off
	;; [unrolled: 1-line block ×5, first 2 shown]
.LBB0_25:
	s_endpgm
	.section	.rodata,"a",@progbits
	.p2align	6, 0x0
	.amdhsa_kernel fft_rtc_fwd_len1632_factors_17_2_2_3_8_wgs_102_tpt_102_halfLds_sp_ip_CI_sbrr_dirReg
		.amdhsa_group_segment_fixed_size 0
		.amdhsa_private_segment_fixed_size 0
		.amdhsa_kernarg_size 88
		.amdhsa_user_sgpr_count 6
		.amdhsa_user_sgpr_private_segment_buffer 1
		.amdhsa_user_sgpr_dispatch_ptr 0
		.amdhsa_user_sgpr_queue_ptr 0
		.amdhsa_user_sgpr_kernarg_segment_ptr 1
		.amdhsa_user_sgpr_dispatch_id 0
		.amdhsa_user_sgpr_flat_scratch_init 0
		.amdhsa_user_sgpr_private_segment_size 0
		.amdhsa_wavefront_size32 1
		.amdhsa_uses_dynamic_stack 0
		.amdhsa_system_sgpr_private_segment_wavefront_offset 0
		.amdhsa_system_sgpr_workgroup_id_x 1
		.amdhsa_system_sgpr_workgroup_id_y 0
		.amdhsa_system_sgpr_workgroup_id_z 0
		.amdhsa_system_sgpr_workgroup_info 0
		.amdhsa_system_vgpr_workitem_id 0
		.amdhsa_next_free_vgpr 106
		.amdhsa_next_free_sgpr 23
		.amdhsa_reserve_vcc 1
		.amdhsa_reserve_flat_scratch 0
		.amdhsa_float_round_mode_32 0
		.amdhsa_float_round_mode_16_64 0
		.amdhsa_float_denorm_mode_32 3
		.amdhsa_float_denorm_mode_16_64 3
		.amdhsa_dx10_clamp 1
		.amdhsa_ieee_mode 1
		.amdhsa_fp16_overflow 0
		.amdhsa_workgroup_processor_mode 1
		.amdhsa_memory_ordered 1
		.amdhsa_forward_progress 0
		.amdhsa_shared_vgpr_count 0
		.amdhsa_exception_fp_ieee_invalid_op 0
		.amdhsa_exception_fp_denorm_src 0
		.amdhsa_exception_fp_ieee_div_zero 0
		.amdhsa_exception_fp_ieee_overflow 0
		.amdhsa_exception_fp_ieee_underflow 0
		.amdhsa_exception_fp_ieee_inexact 0
		.amdhsa_exception_int_div_zero 0
	.end_amdhsa_kernel
	.text
.Lfunc_end0:
	.size	fft_rtc_fwd_len1632_factors_17_2_2_3_8_wgs_102_tpt_102_halfLds_sp_ip_CI_sbrr_dirReg, .Lfunc_end0-fft_rtc_fwd_len1632_factors_17_2_2_3_8_wgs_102_tpt_102_halfLds_sp_ip_CI_sbrr_dirReg
                                        ; -- End function
	.section	.AMDGPU.csdata,"",@progbits
; Kernel info:
; codeLenInByte = 14032
; NumSgprs: 25
; NumVgprs: 106
; ScratchSize: 0
; MemoryBound: 0
; FloatMode: 240
; IeeeMode: 1
; LDSByteSize: 0 bytes/workgroup (compile time only)
; SGPRBlocks: 3
; VGPRBlocks: 13
; NumSGPRsForWavesPerEU: 25
; NumVGPRsForWavesPerEU: 106
; Occupancy: 9
; WaveLimiterHint : 1
; COMPUTE_PGM_RSRC2:SCRATCH_EN: 0
; COMPUTE_PGM_RSRC2:USER_SGPR: 6
; COMPUTE_PGM_RSRC2:TRAP_HANDLER: 0
; COMPUTE_PGM_RSRC2:TGID_X_EN: 1
; COMPUTE_PGM_RSRC2:TGID_Y_EN: 0
; COMPUTE_PGM_RSRC2:TGID_Z_EN: 0
; COMPUTE_PGM_RSRC2:TIDIG_COMP_CNT: 0
	.text
	.p2alignl 6, 3214868480
	.fill 48, 4, 3214868480
	.type	__hip_cuid_11781746e5fe58e6,@object ; @__hip_cuid_11781746e5fe58e6
	.section	.bss,"aw",@nobits
	.globl	__hip_cuid_11781746e5fe58e6
__hip_cuid_11781746e5fe58e6:
	.byte	0                               ; 0x0
	.size	__hip_cuid_11781746e5fe58e6, 1

	.ident	"AMD clang version 19.0.0git (https://github.com/RadeonOpenCompute/llvm-project roc-6.4.0 25133 c7fe45cf4b819c5991fe208aaa96edf142730f1d)"
	.section	".note.GNU-stack","",@progbits
	.addrsig
	.addrsig_sym __hip_cuid_11781746e5fe58e6
	.amdgpu_metadata
---
amdhsa.kernels:
  - .args:
      - .actual_access:  read_only
        .address_space:  global
        .offset:         0
        .size:           8
        .value_kind:     global_buffer
      - .offset:         8
        .size:           8
        .value_kind:     by_value
      - .actual_access:  read_only
        .address_space:  global
        .offset:         16
        .size:           8
        .value_kind:     global_buffer
      - .actual_access:  read_only
        .address_space:  global
        .offset:         24
        .size:           8
        .value_kind:     global_buffer
      - .offset:         32
        .size:           8
        .value_kind:     by_value
      - .actual_access:  read_only
        .address_space:  global
        .offset:         40
        .size:           8
        .value_kind:     global_buffer
      - .actual_access:  read_only
        .address_space:  global
        .offset:         48
        .size:           8
        .value_kind:     global_buffer
      - .offset:         56
        .size:           4
        .value_kind:     by_value
      - .actual_access:  read_only
        .address_space:  global
        .offset:         64
        .size:           8
        .value_kind:     global_buffer
      - .actual_access:  read_only
        .address_space:  global
        .offset:         72
        .size:           8
        .value_kind:     global_buffer
      - .address_space:  global
        .offset:         80
        .size:           8
        .value_kind:     global_buffer
    .group_segment_fixed_size: 0
    .kernarg_segment_align: 8
    .kernarg_segment_size: 88
    .language:       OpenCL C
    .language_version:
      - 2
      - 0
    .max_flat_workgroup_size: 102
    .name:           fft_rtc_fwd_len1632_factors_17_2_2_3_8_wgs_102_tpt_102_halfLds_sp_ip_CI_sbrr_dirReg
    .private_segment_fixed_size: 0
    .sgpr_count:     25
    .sgpr_spill_count: 0
    .symbol:         fft_rtc_fwd_len1632_factors_17_2_2_3_8_wgs_102_tpt_102_halfLds_sp_ip_CI_sbrr_dirReg.kd
    .uniform_work_group_size: 1
    .uses_dynamic_stack: false
    .vgpr_count:     106
    .vgpr_spill_count: 0
    .wavefront_size: 32
    .workgroup_processor_mode: 1
amdhsa.target:   amdgcn-amd-amdhsa--gfx1030
amdhsa.version:
  - 1
  - 2
...

	.end_amdgpu_metadata
